;; amdgpu-corpus repo=ROCm/rocThrust kind=compiled arch=gfx90a opt=O3
	.text
	.amdgcn_target "amdgcn-amd-amdhsa--gfx90a"
	.amdhsa_code_object_version 6
	.section	.text._ZN6thrust23THRUST_200600_302600_NS11hip_rocprim14__parallel_for6kernelILj256ENS1_20__uninitialized_fill7functorINS0_10device_ptrIiEEiEEmLj1EEEvT0_T1_SA_,"axG",@progbits,_ZN6thrust23THRUST_200600_302600_NS11hip_rocprim14__parallel_for6kernelILj256ENS1_20__uninitialized_fill7functorINS0_10device_ptrIiEEiEEmLj1EEEvT0_T1_SA_,comdat
	.protected	_ZN6thrust23THRUST_200600_302600_NS11hip_rocprim14__parallel_for6kernelILj256ENS1_20__uninitialized_fill7functorINS0_10device_ptrIiEEiEEmLj1EEEvT0_T1_SA_ ; -- Begin function _ZN6thrust23THRUST_200600_302600_NS11hip_rocprim14__parallel_for6kernelILj256ENS1_20__uninitialized_fill7functorINS0_10device_ptrIiEEiEEmLj1EEEvT0_T1_SA_
	.globl	_ZN6thrust23THRUST_200600_302600_NS11hip_rocprim14__parallel_for6kernelILj256ENS1_20__uninitialized_fill7functorINS0_10device_ptrIiEEiEEmLj1EEEvT0_T1_SA_
	.p2align	8
	.type	_ZN6thrust23THRUST_200600_302600_NS11hip_rocprim14__parallel_for6kernelILj256ENS1_20__uninitialized_fill7functorINS0_10device_ptrIiEEiEEmLj1EEEvT0_T1_SA_,@function
_ZN6thrust23THRUST_200600_302600_NS11hip_rocprim14__parallel_for6kernelILj256ENS1_20__uninitialized_fill7functorINS0_10device_ptrIiEEiEEmLj1EEEvT0_T1_SA_: ; @_ZN6thrust23THRUST_200600_302600_NS11hip_rocprim14__parallel_for6kernelILj256ENS1_20__uninitialized_fill7functorINS0_10device_ptrIiEEiEEmLj1EEEvT0_T1_SA_
; %bb.0:
	s_load_dwordx4 s[8:11], s[4:5], 0x10
	s_lshl_b32 s0, s6, 8
	v_mov_b32_e32 v2, 0x100
	v_mov_b32_e32 v3, 0
	s_waitcnt lgkmcnt(0)
	s_add_u32 s0, s0, s10
	s_addc_u32 s1, 0, s11
	s_sub_u32 s2, s8, s0
	s_subb_u32 s3, s9, s1
	v_cmp_lt_u64_e32 vcc, s[2:3], v[2:3]
	s_cbranch_vccz .LBB0_2
; %bb.1:
	v_cmp_gt_u32_e32 vcc, s2, v0
	s_and_b64 s[2:3], vcc, exec
	s_cbranch_execz .LBB0_3
	s_branch .LBB0_4
.LBB0_2:
	s_mov_b64 s[2:3], 0
.LBB0_3:
	s_or_b64 s[2:3], s[2:3], exec
.LBB0_4:
	s_and_saveexec_b64 s[6:7], s[2:3]
	s_cbranch_execnz .LBB0_6
; %bb.5:
	s_endpgm
.LBB0_6:
	s_load_dwordx2 s[2:3], s[4:5], 0x0
	s_load_dword s6, s[4:5], 0x8
	s_lshl_b64 s[0:1], s[0:1], 2
	v_mov_b32_e32 v1, 0
	v_lshlrev_b64 v[0:1], 2, v[0:1]
	s_waitcnt lgkmcnt(0)
	s_add_u32 s0, s2, s0
	s_addc_u32 s1, s3, s1
	v_mov_b32_e32 v2, s1
	v_add_co_u32_e32 v0, vcc, s0, v0
	v_addc_co_u32_e32 v1, vcc, v2, v1, vcc
	v_mov_b32_e32 v2, s6
	flat_store_dword v[0:1], v2
	s_endpgm
	.section	.rodata,"a",@progbits
	.p2align	6, 0x0
	.amdhsa_kernel _ZN6thrust23THRUST_200600_302600_NS11hip_rocprim14__parallel_for6kernelILj256ENS1_20__uninitialized_fill7functorINS0_10device_ptrIiEEiEEmLj1EEEvT0_T1_SA_
		.amdhsa_group_segment_fixed_size 0
		.amdhsa_private_segment_fixed_size 0
		.amdhsa_kernarg_size 32
		.amdhsa_user_sgpr_count 6
		.amdhsa_user_sgpr_private_segment_buffer 1
		.amdhsa_user_sgpr_dispatch_ptr 0
		.amdhsa_user_sgpr_queue_ptr 0
		.amdhsa_user_sgpr_kernarg_segment_ptr 1
		.amdhsa_user_sgpr_dispatch_id 0
		.amdhsa_user_sgpr_flat_scratch_init 0
		.amdhsa_user_sgpr_kernarg_preload_length 0
		.amdhsa_user_sgpr_kernarg_preload_offset 0
		.amdhsa_user_sgpr_private_segment_size 0
		.amdhsa_uses_dynamic_stack 0
		.amdhsa_system_sgpr_private_segment_wavefront_offset 0
		.amdhsa_system_sgpr_workgroup_id_x 1
		.amdhsa_system_sgpr_workgroup_id_y 0
		.amdhsa_system_sgpr_workgroup_id_z 0
		.amdhsa_system_sgpr_workgroup_info 0
		.amdhsa_system_vgpr_workitem_id 0
		.amdhsa_next_free_vgpr 4
		.amdhsa_next_free_sgpr 12
		.amdhsa_accum_offset 4
		.amdhsa_reserve_vcc 1
		.amdhsa_reserve_flat_scratch 0
		.amdhsa_float_round_mode_32 0
		.amdhsa_float_round_mode_16_64 0
		.amdhsa_float_denorm_mode_32 3
		.amdhsa_float_denorm_mode_16_64 3
		.amdhsa_dx10_clamp 1
		.amdhsa_ieee_mode 1
		.amdhsa_fp16_overflow 0
		.amdhsa_tg_split 0
		.amdhsa_exception_fp_ieee_invalid_op 0
		.amdhsa_exception_fp_denorm_src 0
		.amdhsa_exception_fp_ieee_div_zero 0
		.amdhsa_exception_fp_ieee_overflow 0
		.amdhsa_exception_fp_ieee_underflow 0
		.amdhsa_exception_fp_ieee_inexact 0
		.amdhsa_exception_int_div_zero 0
	.end_amdhsa_kernel
	.section	.text._ZN6thrust23THRUST_200600_302600_NS11hip_rocprim14__parallel_for6kernelILj256ENS1_20__uninitialized_fill7functorINS0_10device_ptrIiEEiEEmLj1EEEvT0_T1_SA_,"axG",@progbits,_ZN6thrust23THRUST_200600_302600_NS11hip_rocprim14__parallel_for6kernelILj256ENS1_20__uninitialized_fill7functorINS0_10device_ptrIiEEiEEmLj1EEEvT0_T1_SA_,comdat
.Lfunc_end0:
	.size	_ZN6thrust23THRUST_200600_302600_NS11hip_rocprim14__parallel_for6kernelILj256ENS1_20__uninitialized_fill7functorINS0_10device_ptrIiEEiEEmLj1EEEvT0_T1_SA_, .Lfunc_end0-_ZN6thrust23THRUST_200600_302600_NS11hip_rocprim14__parallel_for6kernelILj256ENS1_20__uninitialized_fill7functorINS0_10device_ptrIiEEiEEmLj1EEEvT0_T1_SA_
                                        ; -- End function
	.section	.AMDGPU.csdata,"",@progbits
; Kernel info:
; codeLenInByte = 160
; NumSgprs: 16
; NumVgprs: 4
; NumAgprs: 0
; TotalNumVgprs: 4
; ScratchSize: 0
; MemoryBound: 0
; FloatMode: 240
; IeeeMode: 1
; LDSByteSize: 0 bytes/workgroup (compile time only)
; SGPRBlocks: 1
; VGPRBlocks: 0
; NumSGPRsForWavesPerEU: 16
; NumVGPRsForWavesPerEU: 4
; AccumOffset: 4
; Occupancy: 8
; WaveLimiterHint : 0
; COMPUTE_PGM_RSRC2:SCRATCH_EN: 0
; COMPUTE_PGM_RSRC2:USER_SGPR: 6
; COMPUTE_PGM_RSRC2:TRAP_HANDLER: 0
; COMPUTE_PGM_RSRC2:TGID_X_EN: 1
; COMPUTE_PGM_RSRC2:TGID_Y_EN: 0
; COMPUTE_PGM_RSRC2:TGID_Z_EN: 0
; COMPUTE_PGM_RSRC2:TIDIG_COMP_CNT: 0
; COMPUTE_PGM_RSRC3_GFX90A:ACCUM_OFFSET: 0
; COMPUTE_PGM_RSRC3_GFX90A:TG_SPLIT: 0
	.section	.text._ZN7rocprim17ROCPRIM_400000_NS6detail31init_lookback_scan_state_kernelINS1_19lookback_scan_stateImLb0ELb1EEENS1_16block_id_wrapperIjLb0EEEEEvT_jT0_jPNS7_10value_typeE,"axG",@progbits,_ZN7rocprim17ROCPRIM_400000_NS6detail31init_lookback_scan_state_kernelINS1_19lookback_scan_stateImLb0ELb1EEENS1_16block_id_wrapperIjLb0EEEEEvT_jT0_jPNS7_10value_typeE,comdat
	.protected	_ZN7rocprim17ROCPRIM_400000_NS6detail31init_lookback_scan_state_kernelINS1_19lookback_scan_stateImLb0ELb1EEENS1_16block_id_wrapperIjLb0EEEEEvT_jT0_jPNS7_10value_typeE ; -- Begin function _ZN7rocprim17ROCPRIM_400000_NS6detail31init_lookback_scan_state_kernelINS1_19lookback_scan_stateImLb0ELb1EEENS1_16block_id_wrapperIjLb0EEEEEvT_jT0_jPNS7_10value_typeE
	.globl	_ZN7rocprim17ROCPRIM_400000_NS6detail31init_lookback_scan_state_kernelINS1_19lookback_scan_stateImLb0ELb1EEENS1_16block_id_wrapperIjLb0EEEEEvT_jT0_jPNS7_10value_typeE
	.p2align	8
	.type	_ZN7rocprim17ROCPRIM_400000_NS6detail31init_lookback_scan_state_kernelINS1_19lookback_scan_stateImLb0ELb1EEENS1_16block_id_wrapperIjLb0EEEEEvT_jT0_jPNS7_10value_typeE,@function
_ZN7rocprim17ROCPRIM_400000_NS6detail31init_lookback_scan_state_kernelINS1_19lookback_scan_stateImLb0ELb1EEENS1_16block_id_wrapperIjLb0EEEEEvT_jT0_jPNS7_10value_typeE: ; @_ZN7rocprim17ROCPRIM_400000_NS6detail31init_lookback_scan_state_kernelINS1_19lookback_scan_stateImLb0ELb1EEENS1_16block_id_wrapperIjLb0EEEEEvT_jT0_jPNS7_10value_typeE
; %bb.0:
	s_load_dword s7, s[4:5], 0x2c
	s_load_dwordx2 s[2:3], s[4:5], 0x18
	s_load_dwordx2 s[0:1], s[4:5], 0x0
	s_load_dword s12, s[4:5], 0x8
	s_waitcnt lgkmcnt(0)
	s_and_b32 s7, s7, 0xffff
	s_mul_i32 s6, s6, s7
	s_cmp_eq_u64 s[2:3], 0
	v_add_u32_e32 v0, s6, v0
	s_cbranch_scc1 .LBB1_8
; %bb.1:
	s_load_dword s6, s[4:5], 0x10
	s_mov_b32 s7, 0
	s_waitcnt lgkmcnt(0)
	s_cmp_lt_u32 s6, s12
	s_cselect_b32 s4, s6, 0
	v_cmp_eq_u32_e32 vcc, s4, v0
	s_and_saveexec_b64 s[4:5], vcc
	s_cbranch_execz .LBB1_7
; %bb.2:
	s_add_i32 s6, s6, 64
	s_lshl_b64 s[6:7], s[6:7], 4
	s_add_u32 s10, s0, s6
	s_addc_u32 s11, s1, s7
	v_pk_mov_b32 v[2:3], s[10:11], s[10:11] op_sel:[0,1]
	;;#ASMSTART
	global_load_dwordx4 v[2:5], v[2:3] off glc	
s_waitcnt vmcnt(0)
	;;#ASMEND
	v_mov_b32_e32 v7, 0
	v_and_b32_e32 v6, 0xff, v4
	s_mov_b64 s[8:9], 0
	v_cmp_eq_u64_e32 vcc, 0, v[6:7]
	s_and_saveexec_b64 s[6:7], vcc
	s_cbranch_execz .LBB1_6
; %bb.3:
	v_pk_mov_b32 v[8:9], s[10:11], s[10:11] op_sel:[0,1]
.LBB1_4:                                ; =>This Inner Loop Header: Depth=1
	;;#ASMSTART
	global_load_dwordx4 v[2:5], v[8:9] off glc	
s_waitcnt vmcnt(0)
	;;#ASMEND
	v_and_b32_e32 v6, 0xff, v4
	v_cmp_ne_u64_e32 vcc, 0, v[6:7]
	s_or_b64 s[8:9], vcc, s[8:9]
	s_andn2_b64 exec, exec, s[8:9]
	s_cbranch_execnz .LBB1_4
; %bb.5:
	s_or_b64 exec, exec, s[8:9]
.LBB1_6:
	s_or_b64 exec, exec, s[6:7]
	v_mov_b32_e32 v1, 0
	global_store_dwordx2 v1, v[2:3], s[2:3]
.LBB1_7:
	s_or_b64 exec, exec, s[4:5]
.LBB1_8:
	v_cmp_gt_u32_e32 vcc, s12, v0
	s_and_saveexec_b64 s[2:3], vcc
	s_cbranch_execnz .LBB1_11
; %bb.9:
	s_or_b64 exec, exec, s[2:3]
	v_cmp_gt_u32_e32 vcc, 64, v0
	s_and_saveexec_b64 s[2:3], vcc
	s_cbranch_execnz .LBB1_12
.LBB1_10:
	s_endpgm
.LBB1_11:
	v_add_u32_e32 v2, 64, v0
	v_mov_b32_e32 v3, 0
	v_lshlrev_b64 v[4:5], 4, v[2:3]
	v_mov_b32_e32 v1, s1
	v_add_co_u32_e32 v6, vcc, s0, v4
	v_addc_co_u32_e32 v7, vcc, v1, v5, vcc
	v_mov_b32_e32 v2, v3
	v_mov_b32_e32 v4, v3
	;; [unrolled: 1-line block ×3, first 2 shown]
	global_store_dwordx4 v[6:7], v[2:5], off
	s_or_b64 exec, exec, s[2:3]
	v_cmp_gt_u32_e32 vcc, 64, v0
	s_and_saveexec_b64 s[2:3], vcc
	s_cbranch_execz .LBB1_10
.LBB1_12:
	v_mov_b32_e32 v1, 0
	v_lshlrev_b64 v[2:3], 4, v[0:1]
	v_mov_b32_e32 v0, s1
	v_add_co_u32_e32 v4, vcc, s0, v2
	v_addc_co_u32_e32 v5, vcc, v0, v3, vcc
	v_mov_b32_e32 v2, 0xff
	v_mov_b32_e32 v0, v1
	;; [unrolled: 1-line block ×3, first 2 shown]
	global_store_dwordx4 v[4:5], v[0:3], off
	s_endpgm
	.section	.rodata,"a",@progbits
	.p2align	6, 0x0
	.amdhsa_kernel _ZN7rocprim17ROCPRIM_400000_NS6detail31init_lookback_scan_state_kernelINS1_19lookback_scan_stateImLb0ELb1EEENS1_16block_id_wrapperIjLb0EEEEEvT_jT0_jPNS7_10value_typeE
		.amdhsa_group_segment_fixed_size 0
		.amdhsa_private_segment_fixed_size 0
		.amdhsa_kernarg_size 288
		.amdhsa_user_sgpr_count 6
		.amdhsa_user_sgpr_private_segment_buffer 1
		.amdhsa_user_sgpr_dispatch_ptr 0
		.amdhsa_user_sgpr_queue_ptr 0
		.amdhsa_user_sgpr_kernarg_segment_ptr 1
		.amdhsa_user_sgpr_dispatch_id 0
		.amdhsa_user_sgpr_flat_scratch_init 0
		.amdhsa_user_sgpr_kernarg_preload_length 0
		.amdhsa_user_sgpr_kernarg_preload_offset 0
		.amdhsa_user_sgpr_private_segment_size 0
		.amdhsa_uses_dynamic_stack 0
		.amdhsa_system_sgpr_private_segment_wavefront_offset 0
		.amdhsa_system_sgpr_workgroup_id_x 1
		.amdhsa_system_sgpr_workgroup_id_y 0
		.amdhsa_system_sgpr_workgroup_id_z 0
		.amdhsa_system_sgpr_workgroup_info 0
		.amdhsa_system_vgpr_workitem_id 0
		.amdhsa_next_free_vgpr 10
		.amdhsa_next_free_sgpr 13
		.amdhsa_accum_offset 12
		.amdhsa_reserve_vcc 1
		.amdhsa_reserve_flat_scratch 0
		.amdhsa_float_round_mode_32 0
		.amdhsa_float_round_mode_16_64 0
		.amdhsa_float_denorm_mode_32 3
		.amdhsa_float_denorm_mode_16_64 3
		.amdhsa_dx10_clamp 1
		.amdhsa_ieee_mode 1
		.amdhsa_fp16_overflow 0
		.amdhsa_tg_split 0
		.amdhsa_exception_fp_ieee_invalid_op 0
		.amdhsa_exception_fp_denorm_src 0
		.amdhsa_exception_fp_ieee_div_zero 0
		.amdhsa_exception_fp_ieee_overflow 0
		.amdhsa_exception_fp_ieee_underflow 0
		.amdhsa_exception_fp_ieee_inexact 0
		.amdhsa_exception_int_div_zero 0
	.end_amdhsa_kernel
	.section	.text._ZN7rocprim17ROCPRIM_400000_NS6detail31init_lookback_scan_state_kernelINS1_19lookback_scan_stateImLb0ELb1EEENS1_16block_id_wrapperIjLb0EEEEEvT_jT0_jPNS7_10value_typeE,"axG",@progbits,_ZN7rocprim17ROCPRIM_400000_NS6detail31init_lookback_scan_state_kernelINS1_19lookback_scan_stateImLb0ELb1EEENS1_16block_id_wrapperIjLb0EEEEEvT_jT0_jPNS7_10value_typeE,comdat
.Lfunc_end1:
	.size	_ZN7rocprim17ROCPRIM_400000_NS6detail31init_lookback_scan_state_kernelINS1_19lookback_scan_stateImLb0ELb1EEENS1_16block_id_wrapperIjLb0EEEEEvT_jT0_jPNS7_10value_typeE, .Lfunc_end1-_ZN7rocprim17ROCPRIM_400000_NS6detail31init_lookback_scan_state_kernelINS1_19lookback_scan_stateImLb0ELb1EEENS1_16block_id_wrapperIjLb0EEEEEvT_jT0_jPNS7_10value_typeE
                                        ; -- End function
	.section	.AMDGPU.csdata,"",@progbits
; Kernel info:
; codeLenInByte = 384
; NumSgprs: 17
; NumVgprs: 10
; NumAgprs: 0
; TotalNumVgprs: 10
; ScratchSize: 0
; MemoryBound: 0
; FloatMode: 240
; IeeeMode: 1
; LDSByteSize: 0 bytes/workgroup (compile time only)
; SGPRBlocks: 2
; VGPRBlocks: 1
; NumSGPRsForWavesPerEU: 17
; NumVGPRsForWavesPerEU: 10
; AccumOffset: 12
; Occupancy: 8
; WaveLimiterHint : 0
; COMPUTE_PGM_RSRC2:SCRATCH_EN: 0
; COMPUTE_PGM_RSRC2:USER_SGPR: 6
; COMPUTE_PGM_RSRC2:TRAP_HANDLER: 0
; COMPUTE_PGM_RSRC2:TGID_X_EN: 1
; COMPUTE_PGM_RSRC2:TGID_Y_EN: 0
; COMPUTE_PGM_RSRC2:TGID_Z_EN: 0
; COMPUTE_PGM_RSRC2:TIDIG_COMP_CNT: 0
; COMPUTE_PGM_RSRC3_GFX90A:ACCUM_OFFSET: 2
; COMPUTE_PGM_RSRC3_GFX90A:TG_SPLIT: 0
	.section	.text._ZN7rocprim17ROCPRIM_400000_NS6detail17trampoline_kernelINS0_14default_configENS1_25partition_config_selectorILNS1_17partition_subalgoE5EiNS0_10empty_typeEbEEZZNS1_14partition_implILS5_5ELb0ES3_mN6thrust23THRUST_200600_302600_NS17counting_iteratorIiNSA_11use_defaultESC_SC_EEPS6_NSA_18transform_iteratorINSA_8identityIiEENSA_6detail15normal_iteratorINSA_10device_ptrIiEEEESC_SC_EENS0_5tupleIJSM_S6_EEENSO_IJSE_SE_EEES6_PlJS6_EEE10hipError_tPvRmT3_T4_T5_T6_T7_T9_mT8_P12ihipStream_tbDpT10_ENKUlT_T0_E_clISt17integral_constantIbLb0EES1B_EEDaS16_S17_EUlS16_E_NS1_11comp_targetILNS1_3genE0ELNS1_11target_archE4294967295ELNS1_3gpuE0ELNS1_3repE0EEENS1_30default_config_static_selectorELNS0_4arch9wavefront6targetE1EEEvT1_,"axG",@progbits,_ZN7rocprim17ROCPRIM_400000_NS6detail17trampoline_kernelINS0_14default_configENS1_25partition_config_selectorILNS1_17partition_subalgoE5EiNS0_10empty_typeEbEEZZNS1_14partition_implILS5_5ELb0ES3_mN6thrust23THRUST_200600_302600_NS17counting_iteratorIiNSA_11use_defaultESC_SC_EEPS6_NSA_18transform_iteratorINSA_8identityIiEENSA_6detail15normal_iteratorINSA_10device_ptrIiEEEESC_SC_EENS0_5tupleIJSM_S6_EEENSO_IJSE_SE_EEES6_PlJS6_EEE10hipError_tPvRmT3_T4_T5_T6_T7_T9_mT8_P12ihipStream_tbDpT10_ENKUlT_T0_E_clISt17integral_constantIbLb0EES1B_EEDaS16_S17_EUlS16_E_NS1_11comp_targetILNS1_3genE0ELNS1_11target_archE4294967295ELNS1_3gpuE0ELNS1_3repE0EEENS1_30default_config_static_selectorELNS0_4arch9wavefront6targetE1EEEvT1_,comdat
	.protected	_ZN7rocprim17ROCPRIM_400000_NS6detail17trampoline_kernelINS0_14default_configENS1_25partition_config_selectorILNS1_17partition_subalgoE5EiNS0_10empty_typeEbEEZZNS1_14partition_implILS5_5ELb0ES3_mN6thrust23THRUST_200600_302600_NS17counting_iteratorIiNSA_11use_defaultESC_SC_EEPS6_NSA_18transform_iteratorINSA_8identityIiEENSA_6detail15normal_iteratorINSA_10device_ptrIiEEEESC_SC_EENS0_5tupleIJSM_S6_EEENSO_IJSE_SE_EEES6_PlJS6_EEE10hipError_tPvRmT3_T4_T5_T6_T7_T9_mT8_P12ihipStream_tbDpT10_ENKUlT_T0_E_clISt17integral_constantIbLb0EES1B_EEDaS16_S17_EUlS16_E_NS1_11comp_targetILNS1_3genE0ELNS1_11target_archE4294967295ELNS1_3gpuE0ELNS1_3repE0EEENS1_30default_config_static_selectorELNS0_4arch9wavefront6targetE1EEEvT1_ ; -- Begin function _ZN7rocprim17ROCPRIM_400000_NS6detail17trampoline_kernelINS0_14default_configENS1_25partition_config_selectorILNS1_17partition_subalgoE5EiNS0_10empty_typeEbEEZZNS1_14partition_implILS5_5ELb0ES3_mN6thrust23THRUST_200600_302600_NS17counting_iteratorIiNSA_11use_defaultESC_SC_EEPS6_NSA_18transform_iteratorINSA_8identityIiEENSA_6detail15normal_iteratorINSA_10device_ptrIiEEEESC_SC_EENS0_5tupleIJSM_S6_EEENSO_IJSE_SE_EEES6_PlJS6_EEE10hipError_tPvRmT3_T4_T5_T6_T7_T9_mT8_P12ihipStream_tbDpT10_ENKUlT_T0_E_clISt17integral_constantIbLb0EES1B_EEDaS16_S17_EUlS16_E_NS1_11comp_targetILNS1_3genE0ELNS1_11target_archE4294967295ELNS1_3gpuE0ELNS1_3repE0EEENS1_30default_config_static_selectorELNS0_4arch9wavefront6targetE1EEEvT1_
	.globl	_ZN7rocprim17ROCPRIM_400000_NS6detail17trampoline_kernelINS0_14default_configENS1_25partition_config_selectorILNS1_17partition_subalgoE5EiNS0_10empty_typeEbEEZZNS1_14partition_implILS5_5ELb0ES3_mN6thrust23THRUST_200600_302600_NS17counting_iteratorIiNSA_11use_defaultESC_SC_EEPS6_NSA_18transform_iteratorINSA_8identityIiEENSA_6detail15normal_iteratorINSA_10device_ptrIiEEEESC_SC_EENS0_5tupleIJSM_S6_EEENSO_IJSE_SE_EEES6_PlJS6_EEE10hipError_tPvRmT3_T4_T5_T6_T7_T9_mT8_P12ihipStream_tbDpT10_ENKUlT_T0_E_clISt17integral_constantIbLb0EES1B_EEDaS16_S17_EUlS16_E_NS1_11comp_targetILNS1_3genE0ELNS1_11target_archE4294967295ELNS1_3gpuE0ELNS1_3repE0EEENS1_30default_config_static_selectorELNS0_4arch9wavefront6targetE1EEEvT1_
	.p2align	8
	.type	_ZN7rocprim17ROCPRIM_400000_NS6detail17trampoline_kernelINS0_14default_configENS1_25partition_config_selectorILNS1_17partition_subalgoE5EiNS0_10empty_typeEbEEZZNS1_14partition_implILS5_5ELb0ES3_mN6thrust23THRUST_200600_302600_NS17counting_iteratorIiNSA_11use_defaultESC_SC_EEPS6_NSA_18transform_iteratorINSA_8identityIiEENSA_6detail15normal_iteratorINSA_10device_ptrIiEEEESC_SC_EENS0_5tupleIJSM_S6_EEENSO_IJSE_SE_EEES6_PlJS6_EEE10hipError_tPvRmT3_T4_T5_T6_T7_T9_mT8_P12ihipStream_tbDpT10_ENKUlT_T0_E_clISt17integral_constantIbLb0EES1B_EEDaS16_S17_EUlS16_E_NS1_11comp_targetILNS1_3genE0ELNS1_11target_archE4294967295ELNS1_3gpuE0ELNS1_3repE0EEENS1_30default_config_static_selectorELNS0_4arch9wavefront6targetE1EEEvT1_,@function
_ZN7rocprim17ROCPRIM_400000_NS6detail17trampoline_kernelINS0_14default_configENS1_25partition_config_selectorILNS1_17partition_subalgoE5EiNS0_10empty_typeEbEEZZNS1_14partition_implILS5_5ELb0ES3_mN6thrust23THRUST_200600_302600_NS17counting_iteratorIiNSA_11use_defaultESC_SC_EEPS6_NSA_18transform_iteratorINSA_8identityIiEENSA_6detail15normal_iteratorINSA_10device_ptrIiEEEESC_SC_EENS0_5tupleIJSM_S6_EEENSO_IJSE_SE_EEES6_PlJS6_EEE10hipError_tPvRmT3_T4_T5_T6_T7_T9_mT8_P12ihipStream_tbDpT10_ENKUlT_T0_E_clISt17integral_constantIbLb0EES1B_EEDaS16_S17_EUlS16_E_NS1_11comp_targetILNS1_3genE0ELNS1_11target_archE4294967295ELNS1_3gpuE0ELNS1_3repE0EEENS1_30default_config_static_selectorELNS0_4arch9wavefront6targetE1EEEvT1_: ; @_ZN7rocprim17ROCPRIM_400000_NS6detail17trampoline_kernelINS0_14default_configENS1_25partition_config_selectorILNS1_17partition_subalgoE5EiNS0_10empty_typeEbEEZZNS1_14partition_implILS5_5ELb0ES3_mN6thrust23THRUST_200600_302600_NS17counting_iteratorIiNSA_11use_defaultESC_SC_EEPS6_NSA_18transform_iteratorINSA_8identityIiEENSA_6detail15normal_iteratorINSA_10device_ptrIiEEEESC_SC_EENS0_5tupleIJSM_S6_EEENSO_IJSE_SE_EEES6_PlJS6_EEE10hipError_tPvRmT3_T4_T5_T6_T7_T9_mT8_P12ihipStream_tbDpT10_ENKUlT_T0_E_clISt17integral_constantIbLb0EES1B_EEDaS16_S17_EUlS16_E_NS1_11comp_targetILNS1_3genE0ELNS1_11target_archE4294967295ELNS1_3gpuE0ELNS1_3repE0EEENS1_30default_config_static_selectorELNS0_4arch9wavefront6targetE1EEEvT1_
; %bb.0:
	.section	.rodata,"a",@progbits
	.p2align	6, 0x0
	.amdhsa_kernel _ZN7rocprim17ROCPRIM_400000_NS6detail17trampoline_kernelINS0_14default_configENS1_25partition_config_selectorILNS1_17partition_subalgoE5EiNS0_10empty_typeEbEEZZNS1_14partition_implILS5_5ELb0ES3_mN6thrust23THRUST_200600_302600_NS17counting_iteratorIiNSA_11use_defaultESC_SC_EEPS6_NSA_18transform_iteratorINSA_8identityIiEENSA_6detail15normal_iteratorINSA_10device_ptrIiEEEESC_SC_EENS0_5tupleIJSM_S6_EEENSO_IJSE_SE_EEES6_PlJS6_EEE10hipError_tPvRmT3_T4_T5_T6_T7_T9_mT8_P12ihipStream_tbDpT10_ENKUlT_T0_E_clISt17integral_constantIbLb0EES1B_EEDaS16_S17_EUlS16_E_NS1_11comp_targetILNS1_3genE0ELNS1_11target_archE4294967295ELNS1_3gpuE0ELNS1_3repE0EEENS1_30default_config_static_selectorELNS0_4arch9wavefront6targetE1EEEvT1_
		.amdhsa_group_segment_fixed_size 0
		.amdhsa_private_segment_fixed_size 0
		.amdhsa_kernarg_size 120
		.amdhsa_user_sgpr_count 6
		.amdhsa_user_sgpr_private_segment_buffer 1
		.amdhsa_user_sgpr_dispatch_ptr 0
		.amdhsa_user_sgpr_queue_ptr 0
		.amdhsa_user_sgpr_kernarg_segment_ptr 1
		.amdhsa_user_sgpr_dispatch_id 0
		.amdhsa_user_sgpr_flat_scratch_init 0
		.amdhsa_user_sgpr_kernarg_preload_length 0
		.amdhsa_user_sgpr_kernarg_preload_offset 0
		.amdhsa_user_sgpr_private_segment_size 0
		.amdhsa_uses_dynamic_stack 0
		.amdhsa_system_sgpr_private_segment_wavefront_offset 0
		.amdhsa_system_sgpr_workgroup_id_x 1
		.amdhsa_system_sgpr_workgroup_id_y 0
		.amdhsa_system_sgpr_workgroup_id_z 0
		.amdhsa_system_sgpr_workgroup_info 0
		.amdhsa_system_vgpr_workitem_id 0
		.amdhsa_next_free_vgpr 1
		.amdhsa_next_free_sgpr 0
		.amdhsa_accum_offset 4
		.amdhsa_reserve_vcc 0
		.amdhsa_reserve_flat_scratch 0
		.amdhsa_float_round_mode_32 0
		.amdhsa_float_round_mode_16_64 0
		.amdhsa_float_denorm_mode_32 3
		.amdhsa_float_denorm_mode_16_64 3
		.amdhsa_dx10_clamp 1
		.amdhsa_ieee_mode 1
		.amdhsa_fp16_overflow 0
		.amdhsa_tg_split 0
		.amdhsa_exception_fp_ieee_invalid_op 0
		.amdhsa_exception_fp_denorm_src 0
		.amdhsa_exception_fp_ieee_div_zero 0
		.amdhsa_exception_fp_ieee_overflow 0
		.amdhsa_exception_fp_ieee_underflow 0
		.amdhsa_exception_fp_ieee_inexact 0
		.amdhsa_exception_int_div_zero 0
	.end_amdhsa_kernel
	.section	.text._ZN7rocprim17ROCPRIM_400000_NS6detail17trampoline_kernelINS0_14default_configENS1_25partition_config_selectorILNS1_17partition_subalgoE5EiNS0_10empty_typeEbEEZZNS1_14partition_implILS5_5ELb0ES3_mN6thrust23THRUST_200600_302600_NS17counting_iteratorIiNSA_11use_defaultESC_SC_EEPS6_NSA_18transform_iteratorINSA_8identityIiEENSA_6detail15normal_iteratorINSA_10device_ptrIiEEEESC_SC_EENS0_5tupleIJSM_S6_EEENSO_IJSE_SE_EEES6_PlJS6_EEE10hipError_tPvRmT3_T4_T5_T6_T7_T9_mT8_P12ihipStream_tbDpT10_ENKUlT_T0_E_clISt17integral_constantIbLb0EES1B_EEDaS16_S17_EUlS16_E_NS1_11comp_targetILNS1_3genE0ELNS1_11target_archE4294967295ELNS1_3gpuE0ELNS1_3repE0EEENS1_30default_config_static_selectorELNS0_4arch9wavefront6targetE1EEEvT1_,"axG",@progbits,_ZN7rocprim17ROCPRIM_400000_NS6detail17trampoline_kernelINS0_14default_configENS1_25partition_config_selectorILNS1_17partition_subalgoE5EiNS0_10empty_typeEbEEZZNS1_14partition_implILS5_5ELb0ES3_mN6thrust23THRUST_200600_302600_NS17counting_iteratorIiNSA_11use_defaultESC_SC_EEPS6_NSA_18transform_iteratorINSA_8identityIiEENSA_6detail15normal_iteratorINSA_10device_ptrIiEEEESC_SC_EENS0_5tupleIJSM_S6_EEENSO_IJSE_SE_EEES6_PlJS6_EEE10hipError_tPvRmT3_T4_T5_T6_T7_T9_mT8_P12ihipStream_tbDpT10_ENKUlT_T0_E_clISt17integral_constantIbLb0EES1B_EEDaS16_S17_EUlS16_E_NS1_11comp_targetILNS1_3genE0ELNS1_11target_archE4294967295ELNS1_3gpuE0ELNS1_3repE0EEENS1_30default_config_static_selectorELNS0_4arch9wavefront6targetE1EEEvT1_,comdat
.Lfunc_end2:
	.size	_ZN7rocprim17ROCPRIM_400000_NS6detail17trampoline_kernelINS0_14default_configENS1_25partition_config_selectorILNS1_17partition_subalgoE5EiNS0_10empty_typeEbEEZZNS1_14partition_implILS5_5ELb0ES3_mN6thrust23THRUST_200600_302600_NS17counting_iteratorIiNSA_11use_defaultESC_SC_EEPS6_NSA_18transform_iteratorINSA_8identityIiEENSA_6detail15normal_iteratorINSA_10device_ptrIiEEEESC_SC_EENS0_5tupleIJSM_S6_EEENSO_IJSE_SE_EEES6_PlJS6_EEE10hipError_tPvRmT3_T4_T5_T6_T7_T9_mT8_P12ihipStream_tbDpT10_ENKUlT_T0_E_clISt17integral_constantIbLb0EES1B_EEDaS16_S17_EUlS16_E_NS1_11comp_targetILNS1_3genE0ELNS1_11target_archE4294967295ELNS1_3gpuE0ELNS1_3repE0EEENS1_30default_config_static_selectorELNS0_4arch9wavefront6targetE1EEEvT1_, .Lfunc_end2-_ZN7rocprim17ROCPRIM_400000_NS6detail17trampoline_kernelINS0_14default_configENS1_25partition_config_selectorILNS1_17partition_subalgoE5EiNS0_10empty_typeEbEEZZNS1_14partition_implILS5_5ELb0ES3_mN6thrust23THRUST_200600_302600_NS17counting_iteratorIiNSA_11use_defaultESC_SC_EEPS6_NSA_18transform_iteratorINSA_8identityIiEENSA_6detail15normal_iteratorINSA_10device_ptrIiEEEESC_SC_EENS0_5tupleIJSM_S6_EEENSO_IJSE_SE_EEES6_PlJS6_EEE10hipError_tPvRmT3_T4_T5_T6_T7_T9_mT8_P12ihipStream_tbDpT10_ENKUlT_T0_E_clISt17integral_constantIbLb0EES1B_EEDaS16_S17_EUlS16_E_NS1_11comp_targetILNS1_3genE0ELNS1_11target_archE4294967295ELNS1_3gpuE0ELNS1_3repE0EEENS1_30default_config_static_selectorELNS0_4arch9wavefront6targetE1EEEvT1_
                                        ; -- End function
	.section	.AMDGPU.csdata,"",@progbits
; Kernel info:
; codeLenInByte = 0
; NumSgprs: 4
; NumVgprs: 0
; NumAgprs: 0
; TotalNumVgprs: 0
; ScratchSize: 0
; MemoryBound: 0
; FloatMode: 240
; IeeeMode: 1
; LDSByteSize: 0 bytes/workgroup (compile time only)
; SGPRBlocks: 0
; VGPRBlocks: 0
; NumSGPRsForWavesPerEU: 4
; NumVGPRsForWavesPerEU: 1
; AccumOffset: 4
; Occupancy: 8
; WaveLimiterHint : 0
; COMPUTE_PGM_RSRC2:SCRATCH_EN: 0
; COMPUTE_PGM_RSRC2:USER_SGPR: 6
; COMPUTE_PGM_RSRC2:TRAP_HANDLER: 0
; COMPUTE_PGM_RSRC2:TGID_X_EN: 1
; COMPUTE_PGM_RSRC2:TGID_Y_EN: 0
; COMPUTE_PGM_RSRC2:TGID_Z_EN: 0
; COMPUTE_PGM_RSRC2:TIDIG_COMP_CNT: 0
; COMPUTE_PGM_RSRC3_GFX90A:ACCUM_OFFSET: 0
; COMPUTE_PGM_RSRC3_GFX90A:TG_SPLIT: 0
	.section	.text._ZN7rocprim17ROCPRIM_400000_NS6detail17trampoline_kernelINS0_14default_configENS1_25partition_config_selectorILNS1_17partition_subalgoE5EiNS0_10empty_typeEbEEZZNS1_14partition_implILS5_5ELb0ES3_mN6thrust23THRUST_200600_302600_NS17counting_iteratorIiNSA_11use_defaultESC_SC_EEPS6_NSA_18transform_iteratorINSA_8identityIiEENSA_6detail15normal_iteratorINSA_10device_ptrIiEEEESC_SC_EENS0_5tupleIJSM_S6_EEENSO_IJSE_SE_EEES6_PlJS6_EEE10hipError_tPvRmT3_T4_T5_T6_T7_T9_mT8_P12ihipStream_tbDpT10_ENKUlT_T0_E_clISt17integral_constantIbLb0EES1B_EEDaS16_S17_EUlS16_E_NS1_11comp_targetILNS1_3genE5ELNS1_11target_archE942ELNS1_3gpuE9ELNS1_3repE0EEENS1_30default_config_static_selectorELNS0_4arch9wavefront6targetE1EEEvT1_,"axG",@progbits,_ZN7rocprim17ROCPRIM_400000_NS6detail17trampoline_kernelINS0_14default_configENS1_25partition_config_selectorILNS1_17partition_subalgoE5EiNS0_10empty_typeEbEEZZNS1_14partition_implILS5_5ELb0ES3_mN6thrust23THRUST_200600_302600_NS17counting_iteratorIiNSA_11use_defaultESC_SC_EEPS6_NSA_18transform_iteratorINSA_8identityIiEENSA_6detail15normal_iteratorINSA_10device_ptrIiEEEESC_SC_EENS0_5tupleIJSM_S6_EEENSO_IJSE_SE_EEES6_PlJS6_EEE10hipError_tPvRmT3_T4_T5_T6_T7_T9_mT8_P12ihipStream_tbDpT10_ENKUlT_T0_E_clISt17integral_constantIbLb0EES1B_EEDaS16_S17_EUlS16_E_NS1_11comp_targetILNS1_3genE5ELNS1_11target_archE942ELNS1_3gpuE9ELNS1_3repE0EEENS1_30default_config_static_selectorELNS0_4arch9wavefront6targetE1EEEvT1_,comdat
	.protected	_ZN7rocprim17ROCPRIM_400000_NS6detail17trampoline_kernelINS0_14default_configENS1_25partition_config_selectorILNS1_17partition_subalgoE5EiNS0_10empty_typeEbEEZZNS1_14partition_implILS5_5ELb0ES3_mN6thrust23THRUST_200600_302600_NS17counting_iteratorIiNSA_11use_defaultESC_SC_EEPS6_NSA_18transform_iteratorINSA_8identityIiEENSA_6detail15normal_iteratorINSA_10device_ptrIiEEEESC_SC_EENS0_5tupleIJSM_S6_EEENSO_IJSE_SE_EEES6_PlJS6_EEE10hipError_tPvRmT3_T4_T5_T6_T7_T9_mT8_P12ihipStream_tbDpT10_ENKUlT_T0_E_clISt17integral_constantIbLb0EES1B_EEDaS16_S17_EUlS16_E_NS1_11comp_targetILNS1_3genE5ELNS1_11target_archE942ELNS1_3gpuE9ELNS1_3repE0EEENS1_30default_config_static_selectorELNS0_4arch9wavefront6targetE1EEEvT1_ ; -- Begin function _ZN7rocprim17ROCPRIM_400000_NS6detail17trampoline_kernelINS0_14default_configENS1_25partition_config_selectorILNS1_17partition_subalgoE5EiNS0_10empty_typeEbEEZZNS1_14partition_implILS5_5ELb0ES3_mN6thrust23THRUST_200600_302600_NS17counting_iteratorIiNSA_11use_defaultESC_SC_EEPS6_NSA_18transform_iteratorINSA_8identityIiEENSA_6detail15normal_iteratorINSA_10device_ptrIiEEEESC_SC_EENS0_5tupleIJSM_S6_EEENSO_IJSE_SE_EEES6_PlJS6_EEE10hipError_tPvRmT3_T4_T5_T6_T7_T9_mT8_P12ihipStream_tbDpT10_ENKUlT_T0_E_clISt17integral_constantIbLb0EES1B_EEDaS16_S17_EUlS16_E_NS1_11comp_targetILNS1_3genE5ELNS1_11target_archE942ELNS1_3gpuE9ELNS1_3repE0EEENS1_30default_config_static_selectorELNS0_4arch9wavefront6targetE1EEEvT1_
	.globl	_ZN7rocprim17ROCPRIM_400000_NS6detail17trampoline_kernelINS0_14default_configENS1_25partition_config_selectorILNS1_17partition_subalgoE5EiNS0_10empty_typeEbEEZZNS1_14partition_implILS5_5ELb0ES3_mN6thrust23THRUST_200600_302600_NS17counting_iteratorIiNSA_11use_defaultESC_SC_EEPS6_NSA_18transform_iteratorINSA_8identityIiEENSA_6detail15normal_iteratorINSA_10device_ptrIiEEEESC_SC_EENS0_5tupleIJSM_S6_EEENSO_IJSE_SE_EEES6_PlJS6_EEE10hipError_tPvRmT3_T4_T5_T6_T7_T9_mT8_P12ihipStream_tbDpT10_ENKUlT_T0_E_clISt17integral_constantIbLb0EES1B_EEDaS16_S17_EUlS16_E_NS1_11comp_targetILNS1_3genE5ELNS1_11target_archE942ELNS1_3gpuE9ELNS1_3repE0EEENS1_30default_config_static_selectorELNS0_4arch9wavefront6targetE1EEEvT1_
	.p2align	8
	.type	_ZN7rocprim17ROCPRIM_400000_NS6detail17trampoline_kernelINS0_14default_configENS1_25partition_config_selectorILNS1_17partition_subalgoE5EiNS0_10empty_typeEbEEZZNS1_14partition_implILS5_5ELb0ES3_mN6thrust23THRUST_200600_302600_NS17counting_iteratorIiNSA_11use_defaultESC_SC_EEPS6_NSA_18transform_iteratorINSA_8identityIiEENSA_6detail15normal_iteratorINSA_10device_ptrIiEEEESC_SC_EENS0_5tupleIJSM_S6_EEENSO_IJSE_SE_EEES6_PlJS6_EEE10hipError_tPvRmT3_T4_T5_T6_T7_T9_mT8_P12ihipStream_tbDpT10_ENKUlT_T0_E_clISt17integral_constantIbLb0EES1B_EEDaS16_S17_EUlS16_E_NS1_11comp_targetILNS1_3genE5ELNS1_11target_archE942ELNS1_3gpuE9ELNS1_3repE0EEENS1_30default_config_static_selectorELNS0_4arch9wavefront6targetE1EEEvT1_,@function
_ZN7rocprim17ROCPRIM_400000_NS6detail17trampoline_kernelINS0_14default_configENS1_25partition_config_selectorILNS1_17partition_subalgoE5EiNS0_10empty_typeEbEEZZNS1_14partition_implILS5_5ELb0ES3_mN6thrust23THRUST_200600_302600_NS17counting_iteratorIiNSA_11use_defaultESC_SC_EEPS6_NSA_18transform_iteratorINSA_8identityIiEENSA_6detail15normal_iteratorINSA_10device_ptrIiEEEESC_SC_EENS0_5tupleIJSM_S6_EEENSO_IJSE_SE_EEES6_PlJS6_EEE10hipError_tPvRmT3_T4_T5_T6_T7_T9_mT8_P12ihipStream_tbDpT10_ENKUlT_T0_E_clISt17integral_constantIbLb0EES1B_EEDaS16_S17_EUlS16_E_NS1_11comp_targetILNS1_3genE5ELNS1_11target_archE942ELNS1_3gpuE9ELNS1_3repE0EEENS1_30default_config_static_selectorELNS0_4arch9wavefront6targetE1EEEvT1_: ; @_ZN7rocprim17ROCPRIM_400000_NS6detail17trampoline_kernelINS0_14default_configENS1_25partition_config_selectorILNS1_17partition_subalgoE5EiNS0_10empty_typeEbEEZZNS1_14partition_implILS5_5ELb0ES3_mN6thrust23THRUST_200600_302600_NS17counting_iteratorIiNSA_11use_defaultESC_SC_EEPS6_NSA_18transform_iteratorINSA_8identityIiEENSA_6detail15normal_iteratorINSA_10device_ptrIiEEEESC_SC_EENS0_5tupleIJSM_S6_EEENSO_IJSE_SE_EEES6_PlJS6_EEE10hipError_tPvRmT3_T4_T5_T6_T7_T9_mT8_P12ihipStream_tbDpT10_ENKUlT_T0_E_clISt17integral_constantIbLb0EES1B_EEDaS16_S17_EUlS16_E_NS1_11comp_targetILNS1_3genE5ELNS1_11target_archE942ELNS1_3gpuE9ELNS1_3repE0EEENS1_30default_config_static_selectorELNS0_4arch9wavefront6targetE1EEEvT1_
; %bb.0:
	.section	.rodata,"a",@progbits
	.p2align	6, 0x0
	.amdhsa_kernel _ZN7rocprim17ROCPRIM_400000_NS6detail17trampoline_kernelINS0_14default_configENS1_25partition_config_selectorILNS1_17partition_subalgoE5EiNS0_10empty_typeEbEEZZNS1_14partition_implILS5_5ELb0ES3_mN6thrust23THRUST_200600_302600_NS17counting_iteratorIiNSA_11use_defaultESC_SC_EEPS6_NSA_18transform_iteratorINSA_8identityIiEENSA_6detail15normal_iteratorINSA_10device_ptrIiEEEESC_SC_EENS0_5tupleIJSM_S6_EEENSO_IJSE_SE_EEES6_PlJS6_EEE10hipError_tPvRmT3_T4_T5_T6_T7_T9_mT8_P12ihipStream_tbDpT10_ENKUlT_T0_E_clISt17integral_constantIbLb0EES1B_EEDaS16_S17_EUlS16_E_NS1_11comp_targetILNS1_3genE5ELNS1_11target_archE942ELNS1_3gpuE9ELNS1_3repE0EEENS1_30default_config_static_selectorELNS0_4arch9wavefront6targetE1EEEvT1_
		.amdhsa_group_segment_fixed_size 0
		.amdhsa_private_segment_fixed_size 0
		.amdhsa_kernarg_size 120
		.amdhsa_user_sgpr_count 6
		.amdhsa_user_sgpr_private_segment_buffer 1
		.amdhsa_user_sgpr_dispatch_ptr 0
		.amdhsa_user_sgpr_queue_ptr 0
		.amdhsa_user_sgpr_kernarg_segment_ptr 1
		.amdhsa_user_sgpr_dispatch_id 0
		.amdhsa_user_sgpr_flat_scratch_init 0
		.amdhsa_user_sgpr_kernarg_preload_length 0
		.amdhsa_user_sgpr_kernarg_preload_offset 0
		.amdhsa_user_sgpr_private_segment_size 0
		.amdhsa_uses_dynamic_stack 0
		.amdhsa_system_sgpr_private_segment_wavefront_offset 0
		.amdhsa_system_sgpr_workgroup_id_x 1
		.amdhsa_system_sgpr_workgroup_id_y 0
		.amdhsa_system_sgpr_workgroup_id_z 0
		.amdhsa_system_sgpr_workgroup_info 0
		.amdhsa_system_vgpr_workitem_id 0
		.amdhsa_next_free_vgpr 1
		.amdhsa_next_free_sgpr 0
		.amdhsa_accum_offset 4
		.amdhsa_reserve_vcc 0
		.amdhsa_reserve_flat_scratch 0
		.amdhsa_float_round_mode_32 0
		.amdhsa_float_round_mode_16_64 0
		.amdhsa_float_denorm_mode_32 3
		.amdhsa_float_denorm_mode_16_64 3
		.amdhsa_dx10_clamp 1
		.amdhsa_ieee_mode 1
		.amdhsa_fp16_overflow 0
		.amdhsa_tg_split 0
		.amdhsa_exception_fp_ieee_invalid_op 0
		.amdhsa_exception_fp_denorm_src 0
		.amdhsa_exception_fp_ieee_div_zero 0
		.amdhsa_exception_fp_ieee_overflow 0
		.amdhsa_exception_fp_ieee_underflow 0
		.amdhsa_exception_fp_ieee_inexact 0
		.amdhsa_exception_int_div_zero 0
	.end_amdhsa_kernel
	.section	.text._ZN7rocprim17ROCPRIM_400000_NS6detail17trampoline_kernelINS0_14default_configENS1_25partition_config_selectorILNS1_17partition_subalgoE5EiNS0_10empty_typeEbEEZZNS1_14partition_implILS5_5ELb0ES3_mN6thrust23THRUST_200600_302600_NS17counting_iteratorIiNSA_11use_defaultESC_SC_EEPS6_NSA_18transform_iteratorINSA_8identityIiEENSA_6detail15normal_iteratorINSA_10device_ptrIiEEEESC_SC_EENS0_5tupleIJSM_S6_EEENSO_IJSE_SE_EEES6_PlJS6_EEE10hipError_tPvRmT3_T4_T5_T6_T7_T9_mT8_P12ihipStream_tbDpT10_ENKUlT_T0_E_clISt17integral_constantIbLb0EES1B_EEDaS16_S17_EUlS16_E_NS1_11comp_targetILNS1_3genE5ELNS1_11target_archE942ELNS1_3gpuE9ELNS1_3repE0EEENS1_30default_config_static_selectorELNS0_4arch9wavefront6targetE1EEEvT1_,"axG",@progbits,_ZN7rocprim17ROCPRIM_400000_NS6detail17trampoline_kernelINS0_14default_configENS1_25partition_config_selectorILNS1_17partition_subalgoE5EiNS0_10empty_typeEbEEZZNS1_14partition_implILS5_5ELb0ES3_mN6thrust23THRUST_200600_302600_NS17counting_iteratorIiNSA_11use_defaultESC_SC_EEPS6_NSA_18transform_iteratorINSA_8identityIiEENSA_6detail15normal_iteratorINSA_10device_ptrIiEEEESC_SC_EENS0_5tupleIJSM_S6_EEENSO_IJSE_SE_EEES6_PlJS6_EEE10hipError_tPvRmT3_T4_T5_T6_T7_T9_mT8_P12ihipStream_tbDpT10_ENKUlT_T0_E_clISt17integral_constantIbLb0EES1B_EEDaS16_S17_EUlS16_E_NS1_11comp_targetILNS1_3genE5ELNS1_11target_archE942ELNS1_3gpuE9ELNS1_3repE0EEENS1_30default_config_static_selectorELNS0_4arch9wavefront6targetE1EEEvT1_,comdat
.Lfunc_end3:
	.size	_ZN7rocprim17ROCPRIM_400000_NS6detail17trampoline_kernelINS0_14default_configENS1_25partition_config_selectorILNS1_17partition_subalgoE5EiNS0_10empty_typeEbEEZZNS1_14partition_implILS5_5ELb0ES3_mN6thrust23THRUST_200600_302600_NS17counting_iteratorIiNSA_11use_defaultESC_SC_EEPS6_NSA_18transform_iteratorINSA_8identityIiEENSA_6detail15normal_iteratorINSA_10device_ptrIiEEEESC_SC_EENS0_5tupleIJSM_S6_EEENSO_IJSE_SE_EEES6_PlJS6_EEE10hipError_tPvRmT3_T4_T5_T6_T7_T9_mT8_P12ihipStream_tbDpT10_ENKUlT_T0_E_clISt17integral_constantIbLb0EES1B_EEDaS16_S17_EUlS16_E_NS1_11comp_targetILNS1_3genE5ELNS1_11target_archE942ELNS1_3gpuE9ELNS1_3repE0EEENS1_30default_config_static_selectorELNS0_4arch9wavefront6targetE1EEEvT1_, .Lfunc_end3-_ZN7rocprim17ROCPRIM_400000_NS6detail17trampoline_kernelINS0_14default_configENS1_25partition_config_selectorILNS1_17partition_subalgoE5EiNS0_10empty_typeEbEEZZNS1_14partition_implILS5_5ELb0ES3_mN6thrust23THRUST_200600_302600_NS17counting_iteratorIiNSA_11use_defaultESC_SC_EEPS6_NSA_18transform_iteratorINSA_8identityIiEENSA_6detail15normal_iteratorINSA_10device_ptrIiEEEESC_SC_EENS0_5tupleIJSM_S6_EEENSO_IJSE_SE_EEES6_PlJS6_EEE10hipError_tPvRmT3_T4_T5_T6_T7_T9_mT8_P12ihipStream_tbDpT10_ENKUlT_T0_E_clISt17integral_constantIbLb0EES1B_EEDaS16_S17_EUlS16_E_NS1_11comp_targetILNS1_3genE5ELNS1_11target_archE942ELNS1_3gpuE9ELNS1_3repE0EEENS1_30default_config_static_selectorELNS0_4arch9wavefront6targetE1EEEvT1_
                                        ; -- End function
	.section	.AMDGPU.csdata,"",@progbits
; Kernel info:
; codeLenInByte = 0
; NumSgprs: 4
; NumVgprs: 0
; NumAgprs: 0
; TotalNumVgprs: 0
; ScratchSize: 0
; MemoryBound: 0
; FloatMode: 240
; IeeeMode: 1
; LDSByteSize: 0 bytes/workgroup (compile time only)
; SGPRBlocks: 0
; VGPRBlocks: 0
; NumSGPRsForWavesPerEU: 4
; NumVGPRsForWavesPerEU: 1
; AccumOffset: 4
; Occupancy: 8
; WaveLimiterHint : 0
; COMPUTE_PGM_RSRC2:SCRATCH_EN: 0
; COMPUTE_PGM_RSRC2:USER_SGPR: 6
; COMPUTE_PGM_RSRC2:TRAP_HANDLER: 0
; COMPUTE_PGM_RSRC2:TGID_X_EN: 1
; COMPUTE_PGM_RSRC2:TGID_Y_EN: 0
; COMPUTE_PGM_RSRC2:TGID_Z_EN: 0
; COMPUTE_PGM_RSRC2:TIDIG_COMP_CNT: 0
; COMPUTE_PGM_RSRC3_GFX90A:ACCUM_OFFSET: 0
; COMPUTE_PGM_RSRC3_GFX90A:TG_SPLIT: 0
	.section	.text._ZN7rocprim17ROCPRIM_400000_NS6detail17trampoline_kernelINS0_14default_configENS1_25partition_config_selectorILNS1_17partition_subalgoE5EiNS0_10empty_typeEbEEZZNS1_14partition_implILS5_5ELb0ES3_mN6thrust23THRUST_200600_302600_NS17counting_iteratorIiNSA_11use_defaultESC_SC_EEPS6_NSA_18transform_iteratorINSA_8identityIiEENSA_6detail15normal_iteratorINSA_10device_ptrIiEEEESC_SC_EENS0_5tupleIJSM_S6_EEENSO_IJSE_SE_EEES6_PlJS6_EEE10hipError_tPvRmT3_T4_T5_T6_T7_T9_mT8_P12ihipStream_tbDpT10_ENKUlT_T0_E_clISt17integral_constantIbLb0EES1B_EEDaS16_S17_EUlS16_E_NS1_11comp_targetILNS1_3genE4ELNS1_11target_archE910ELNS1_3gpuE8ELNS1_3repE0EEENS1_30default_config_static_selectorELNS0_4arch9wavefront6targetE1EEEvT1_,"axG",@progbits,_ZN7rocprim17ROCPRIM_400000_NS6detail17trampoline_kernelINS0_14default_configENS1_25partition_config_selectorILNS1_17partition_subalgoE5EiNS0_10empty_typeEbEEZZNS1_14partition_implILS5_5ELb0ES3_mN6thrust23THRUST_200600_302600_NS17counting_iteratorIiNSA_11use_defaultESC_SC_EEPS6_NSA_18transform_iteratorINSA_8identityIiEENSA_6detail15normal_iteratorINSA_10device_ptrIiEEEESC_SC_EENS0_5tupleIJSM_S6_EEENSO_IJSE_SE_EEES6_PlJS6_EEE10hipError_tPvRmT3_T4_T5_T6_T7_T9_mT8_P12ihipStream_tbDpT10_ENKUlT_T0_E_clISt17integral_constantIbLb0EES1B_EEDaS16_S17_EUlS16_E_NS1_11comp_targetILNS1_3genE4ELNS1_11target_archE910ELNS1_3gpuE8ELNS1_3repE0EEENS1_30default_config_static_selectorELNS0_4arch9wavefront6targetE1EEEvT1_,comdat
	.protected	_ZN7rocprim17ROCPRIM_400000_NS6detail17trampoline_kernelINS0_14default_configENS1_25partition_config_selectorILNS1_17partition_subalgoE5EiNS0_10empty_typeEbEEZZNS1_14partition_implILS5_5ELb0ES3_mN6thrust23THRUST_200600_302600_NS17counting_iteratorIiNSA_11use_defaultESC_SC_EEPS6_NSA_18transform_iteratorINSA_8identityIiEENSA_6detail15normal_iteratorINSA_10device_ptrIiEEEESC_SC_EENS0_5tupleIJSM_S6_EEENSO_IJSE_SE_EEES6_PlJS6_EEE10hipError_tPvRmT3_T4_T5_T6_T7_T9_mT8_P12ihipStream_tbDpT10_ENKUlT_T0_E_clISt17integral_constantIbLb0EES1B_EEDaS16_S17_EUlS16_E_NS1_11comp_targetILNS1_3genE4ELNS1_11target_archE910ELNS1_3gpuE8ELNS1_3repE0EEENS1_30default_config_static_selectorELNS0_4arch9wavefront6targetE1EEEvT1_ ; -- Begin function _ZN7rocprim17ROCPRIM_400000_NS6detail17trampoline_kernelINS0_14default_configENS1_25partition_config_selectorILNS1_17partition_subalgoE5EiNS0_10empty_typeEbEEZZNS1_14partition_implILS5_5ELb0ES3_mN6thrust23THRUST_200600_302600_NS17counting_iteratorIiNSA_11use_defaultESC_SC_EEPS6_NSA_18transform_iteratorINSA_8identityIiEENSA_6detail15normal_iteratorINSA_10device_ptrIiEEEESC_SC_EENS0_5tupleIJSM_S6_EEENSO_IJSE_SE_EEES6_PlJS6_EEE10hipError_tPvRmT3_T4_T5_T6_T7_T9_mT8_P12ihipStream_tbDpT10_ENKUlT_T0_E_clISt17integral_constantIbLb0EES1B_EEDaS16_S17_EUlS16_E_NS1_11comp_targetILNS1_3genE4ELNS1_11target_archE910ELNS1_3gpuE8ELNS1_3repE0EEENS1_30default_config_static_selectorELNS0_4arch9wavefront6targetE1EEEvT1_
	.globl	_ZN7rocprim17ROCPRIM_400000_NS6detail17trampoline_kernelINS0_14default_configENS1_25partition_config_selectorILNS1_17partition_subalgoE5EiNS0_10empty_typeEbEEZZNS1_14partition_implILS5_5ELb0ES3_mN6thrust23THRUST_200600_302600_NS17counting_iteratorIiNSA_11use_defaultESC_SC_EEPS6_NSA_18transform_iteratorINSA_8identityIiEENSA_6detail15normal_iteratorINSA_10device_ptrIiEEEESC_SC_EENS0_5tupleIJSM_S6_EEENSO_IJSE_SE_EEES6_PlJS6_EEE10hipError_tPvRmT3_T4_T5_T6_T7_T9_mT8_P12ihipStream_tbDpT10_ENKUlT_T0_E_clISt17integral_constantIbLb0EES1B_EEDaS16_S17_EUlS16_E_NS1_11comp_targetILNS1_3genE4ELNS1_11target_archE910ELNS1_3gpuE8ELNS1_3repE0EEENS1_30default_config_static_selectorELNS0_4arch9wavefront6targetE1EEEvT1_
	.p2align	8
	.type	_ZN7rocprim17ROCPRIM_400000_NS6detail17trampoline_kernelINS0_14default_configENS1_25partition_config_selectorILNS1_17partition_subalgoE5EiNS0_10empty_typeEbEEZZNS1_14partition_implILS5_5ELb0ES3_mN6thrust23THRUST_200600_302600_NS17counting_iteratorIiNSA_11use_defaultESC_SC_EEPS6_NSA_18transform_iteratorINSA_8identityIiEENSA_6detail15normal_iteratorINSA_10device_ptrIiEEEESC_SC_EENS0_5tupleIJSM_S6_EEENSO_IJSE_SE_EEES6_PlJS6_EEE10hipError_tPvRmT3_T4_T5_T6_T7_T9_mT8_P12ihipStream_tbDpT10_ENKUlT_T0_E_clISt17integral_constantIbLb0EES1B_EEDaS16_S17_EUlS16_E_NS1_11comp_targetILNS1_3genE4ELNS1_11target_archE910ELNS1_3gpuE8ELNS1_3repE0EEENS1_30default_config_static_selectorELNS0_4arch9wavefront6targetE1EEEvT1_,@function
_ZN7rocprim17ROCPRIM_400000_NS6detail17trampoline_kernelINS0_14default_configENS1_25partition_config_selectorILNS1_17partition_subalgoE5EiNS0_10empty_typeEbEEZZNS1_14partition_implILS5_5ELb0ES3_mN6thrust23THRUST_200600_302600_NS17counting_iteratorIiNSA_11use_defaultESC_SC_EEPS6_NSA_18transform_iteratorINSA_8identityIiEENSA_6detail15normal_iteratorINSA_10device_ptrIiEEEESC_SC_EENS0_5tupleIJSM_S6_EEENSO_IJSE_SE_EEES6_PlJS6_EEE10hipError_tPvRmT3_T4_T5_T6_T7_T9_mT8_P12ihipStream_tbDpT10_ENKUlT_T0_E_clISt17integral_constantIbLb0EES1B_EEDaS16_S17_EUlS16_E_NS1_11comp_targetILNS1_3genE4ELNS1_11target_archE910ELNS1_3gpuE8ELNS1_3repE0EEENS1_30default_config_static_selectorELNS0_4arch9wavefront6targetE1EEEvT1_: ; @_ZN7rocprim17ROCPRIM_400000_NS6detail17trampoline_kernelINS0_14default_configENS1_25partition_config_selectorILNS1_17partition_subalgoE5EiNS0_10empty_typeEbEEZZNS1_14partition_implILS5_5ELb0ES3_mN6thrust23THRUST_200600_302600_NS17counting_iteratorIiNSA_11use_defaultESC_SC_EEPS6_NSA_18transform_iteratorINSA_8identityIiEENSA_6detail15normal_iteratorINSA_10device_ptrIiEEEESC_SC_EENS0_5tupleIJSM_S6_EEENSO_IJSE_SE_EEES6_PlJS6_EEE10hipError_tPvRmT3_T4_T5_T6_T7_T9_mT8_P12ihipStream_tbDpT10_ENKUlT_T0_E_clISt17integral_constantIbLb0EES1B_EEDaS16_S17_EUlS16_E_NS1_11comp_targetILNS1_3genE4ELNS1_11target_archE910ELNS1_3gpuE8ELNS1_3repE0EEENS1_30default_config_static_selectorELNS0_4arch9wavefront6targetE1EEEvT1_
; %bb.0:
	s_load_dwordx2 s[2:3], s[4:5], 0x58
	s_load_dwordx4 s[16:19], s[4:5], 0x48
	s_load_dword s1, s[4:5], 0x8
	s_load_dwordx2 s[8:9], s[4:5], 0x10
	s_load_dwordx2 s[10:11], s[4:5], 0x20
	s_load_dword s7, s[4:5], 0x70
	s_waitcnt lgkmcnt(0)
	v_mov_b32_e32 v3, s3
	v_mov_b32_e32 v2, s2
	s_load_dwordx2 s[18:19], s[18:19], 0x0
	s_mul_i32 s0, s6, 0x700
	s_add_i32 s14, s7, -1
	s_mul_i32 s3, s7, 0x700
	s_add_u32 s12, s8, s3
	s_addc_u32 s13, s9, 0
	s_cmp_eq_u32 s6, s14
	v_cmp_ge_u64_e32 vcc, s[12:13], v[2:3]
	s_cselect_b64 s[20:21], -1, 0
	s_and_b64 s[14:15], s[20:21], vcc
	s_add_i32 s1, s1, s0
	s_xor_b64 s[22:23], s[14:15], -1
	s_add_i32 s1, s1, s8
	s_mov_b64 s[12:13], -1
	v_add_u32_e32 v1, s1, v0
	s_and_b64 vcc, exec, s[22:23]
	v_lshlrev_b32_e32 v2, 2, v0
	s_cbranch_vccz .LBB4_2
; %bb.1:
	v_add_u32_e32 v3, 0x100, v1
	v_add_u32_e32 v4, 0x200, v1
	;; [unrolled: 1-line block ×6, first 2 shown]
	ds_write2st64_b32 v2, v1, v3 offset1:4
	ds_write2st64_b32 v2, v4, v5 offset0:8 offset1:12
	ds_write2st64_b32 v2, v6, v7 offset0:16 offset1:20
	ds_write_b32 v2, v8 offset:6144
	s_waitcnt lgkmcnt(0)
	s_barrier
	s_mov_b64 s[12:13], 0
.LBB4_2:
	s_andn2_b64 vcc, exec, s[12:13]
	s_cbranch_vccnz .LBB4_4
; %bb.3:
	v_add_u32_e32 v3, 0x100, v1
	v_add_u32_e32 v4, 0x200, v1
	;; [unrolled: 1-line block ×6, first 2 shown]
	ds_write2st64_b32 v2, v1, v3 offset1:4
	ds_write2st64_b32 v2, v4, v5 offset0:8 offset1:12
	ds_write2st64_b32 v2, v6, v7 offset0:16 offset1:20
	ds_write_b32 v2, v8 offset:6144
	s_waitcnt lgkmcnt(0)
	s_barrier
.LBB4_4:
	v_mul_u32_u24_e32 v1, 7, v0
	v_lshlrev_b32_e32 v1, 2, v1
	s_waitcnt lgkmcnt(0)
	ds_read2_b32 v[14:15], v1 offset1:1
	ds_read2_b32 v[12:13], v1 offset0:2 offset1:3
	ds_read2_b32 v[10:11], v1 offset0:4 offset1:5
	ds_read_b32 v17, v1 offset:24
	s_lshl_b64 s[12:13], s[8:9], 2
	s_add_u32 s7, s10, s12
	s_mov_b32 s1, 0
	s_addc_u32 s9, s11, s13
	s_lshl_b64 s[0:1], s[0:1], 2
	s_add_u32 s0, s7, s0
	s_addc_u32 s1, s9, s1
	s_mov_b64 s[10:11], -1
	s_and_b64 vcc, exec, s[22:23]
	s_waitcnt lgkmcnt(0)
	s_barrier
	s_cbranch_vccz .LBB4_6
; %bb.5:
	global_load_dword v6, v2, s[0:1]
	global_load_dword v7, v2, s[0:1] offset:1024
	v_mov_b32_e32 v3, s1
	v_add_co_u32_e32 v4, vcc, s0, v2
	v_addc_co_u32_e32 v3, vcc, 0, v3, vcc
	global_load_dword v8, v2, s[0:1] offset:2048
	global_load_dword v9, v2, s[0:1] offset:3072
	s_movk_i32 s7, 0x1000
	v_add_co_u32_e32 v4, vcc, s7, v4
	v_addc_co_u32_e32 v5, vcc, 0, v3, vcc
	global_load_dword v3, v[4:5], off
	global_load_dword v16, v[4:5], off offset:1024
	global_load_dword v18, v[4:5], off offset:2048
	s_mov_b64 s[10:11], 0
	s_waitcnt vmcnt(6)
	v_cmp_ne_u32_e32 vcc, 0, v6
	v_cndmask_b32_e64 v4, 0, 1, vcc
	s_waitcnt vmcnt(5)
	v_cmp_ne_u32_e32 vcc, 0, v7
	v_cndmask_b32_e64 v5, 0, 1, vcc
	;; [unrolled: 3-line block ×4, first 2 shown]
	ds_write_b8 v0, v4
	ds_write_b8 v0, v5 offset:256
	ds_write_b8 v0, v6 offset:512
	;; [unrolled: 1-line block ×3, first 2 shown]
	s_waitcnt vmcnt(2)
	v_cmp_ne_u32_e32 vcc, 0, v3
	v_cndmask_b32_e64 v3, 0, 1, vcc
	s_waitcnt vmcnt(1)
	v_cmp_ne_u32_e32 vcc, 0, v16
	v_cndmask_b32_e64 v4, 0, 1, vcc
	;; [unrolled: 3-line block ×3, first 2 shown]
	ds_write_b8 v0, v3 offset:1024
	ds_write_b8 v0, v4 offset:1280
	;; [unrolled: 1-line block ×3, first 2 shown]
	s_waitcnt lgkmcnt(0)
	s_barrier
.LBB4_6:
	s_load_dwordx2 s[24:25], s[4:5], 0x68
	s_andn2_b64 vcc, exec, s[10:11]
	s_cbranch_vccnz .LBB4_22
; %bb.7:
	s_add_i32 s3, s3, s8
	s_sub_i32 s7, s2, s3
	s_addk_i32 s7, 0x700
	v_cmp_gt_u32_e32 vcc, s7, v0
	v_mov_b32_e32 v3, 0
	v_mov_b32_e32 v4, 0
	s_and_saveexec_b64 s[2:3], vcc
	s_cbranch_execz .LBB4_9
; %bb.8:
	global_load_dword v4, v2, s[0:1]
	s_waitcnt vmcnt(0)
	v_cmp_ne_u32_e32 vcc, 0, v4
	v_cndmask_b32_e64 v4, 0, 1, vcc
.LBB4_9:
	s_or_b64 exec, exec, s[2:3]
	v_or_b32_e32 v5, 0x100, v0
	v_cmp_gt_u32_e32 vcc, s7, v5
	s_and_saveexec_b64 s[2:3], vcc
	s_cbranch_execz .LBB4_11
; %bb.10:
	global_load_dword v3, v2, s[0:1] offset:1024
	s_waitcnt vmcnt(0)
	v_cmp_ne_u32_e32 vcc, 0, v3
	v_cndmask_b32_e64 v3, 0, 1, vcc
.LBB4_11:
	s_or_b64 exec, exec, s[2:3]
	v_or_b32_e32 v5, 0x200, v0
	v_cmp_gt_u32_e32 vcc, s7, v5
	v_mov_b32_e32 v5, 0
	v_mov_b32_e32 v6, 0
	s_and_saveexec_b64 s[2:3], vcc
	s_cbranch_execz .LBB4_13
; %bb.12:
	global_load_dword v6, v2, s[0:1] offset:2048
	s_waitcnt vmcnt(0)
	v_cmp_ne_u32_e32 vcc, 0, v6
	v_cndmask_b32_e64 v6, 0, 1, vcc
.LBB4_13:
	s_or_b64 exec, exec, s[2:3]
	v_or_b32_e32 v7, 0x300, v0
	v_cmp_gt_u32_e32 vcc, s7, v7
	s_and_saveexec_b64 s[2:3], vcc
	s_cbranch_execz .LBB4_15
; %bb.14:
	global_load_dword v2, v2, s[0:1] offset:3072
	s_waitcnt vmcnt(0)
	v_cmp_ne_u32_e32 vcc, 0, v2
	v_cndmask_b32_e64 v5, 0, 1, vcc
.LBB4_15:
	s_or_b64 exec, exec, s[2:3]
	v_or_b32_e32 v8, 0x400, v0
	v_cmp_gt_u32_e32 vcc, s7, v8
	v_mov_b32_e32 v2, 0
	v_mov_b32_e32 v7, 0
	s_and_saveexec_b64 s[2:3], vcc
	s_cbranch_execz .LBB4_17
; %bb.16:
	v_lshlrev_b32_e32 v7, 2, v8
	global_load_dword v7, v7, s[0:1]
	s_waitcnt vmcnt(0)
	v_cmp_ne_u32_e32 vcc, 0, v7
	v_cndmask_b32_e64 v7, 0, 1, vcc
.LBB4_17:
	s_or_b64 exec, exec, s[2:3]
	v_or_b32_e32 v8, 0x500, v0
	v_cmp_gt_u32_e32 vcc, s7, v8
	s_and_saveexec_b64 s[2:3], vcc
	s_cbranch_execz .LBB4_19
; %bb.18:
	v_lshlrev_b32_e32 v2, 2, v8
	global_load_dword v2, v2, s[0:1]
	s_waitcnt vmcnt(0)
	v_cmp_ne_u32_e32 vcc, 0, v2
	v_cndmask_b32_e64 v2, 0, 1, vcc
.LBB4_19:
	s_or_b64 exec, exec, s[2:3]
	v_or_b32_e32 v9, 0x600, v0
	v_cmp_gt_u32_e32 vcc, s7, v9
	v_mov_b32_e32 v8, 0
	s_and_saveexec_b64 s[2:3], vcc
	s_cbranch_execz .LBB4_21
; %bb.20:
	v_lshlrev_b32_e32 v8, 2, v9
	global_load_dword v8, v8, s[0:1]
	s_waitcnt vmcnt(0)
	v_cmp_ne_u32_e32 vcc, 0, v8
	v_cndmask_b32_e64 v8, 0, 1, vcc
.LBB4_21:
	s_or_b64 exec, exec, s[2:3]
	ds_write_b8 v0, v4
	ds_write_b8 v0, v3 offset:256
	ds_write_b8 v0, v6 offset:512
	;; [unrolled: 1-line block ×6, first 2 shown]
	s_waitcnt lgkmcnt(0)
	s_barrier
.LBB4_22:
	s_movk_i32 s0, 0xffeb
	v_mad_i32_i24 v23, v0, s0, v1
	s_waitcnt lgkmcnt(0)
	ds_read_u8 v1, v23
	ds_read_u8 v2, v23 offset:1
	ds_read_u8 v3, v23 offset:2
	;; [unrolled: 1-line block ×6, first 2 shown]
	s_waitcnt lgkmcnt(6)
	v_and_b32_e32 v26, 1, v1
	s_waitcnt lgkmcnt(5)
	v_and_b32_e32 v24, 1, v2
	;; [unrolled: 2-line block ×3, first 2 shown]
	v_add_co_u32_e32 v2, vcc, v24, v26
	v_addc_co_u32_e64 v3, s[0:1], 0, 0, vcc
	v_add_co_u32_e32 v2, vcc, v2, v22
	s_waitcnt lgkmcnt(3)
	v_and_b32_e32 v20, 1, v4
	v_addc_co_u32_e32 v3, vcc, 0, v3, vcc
	v_add_co_u32_e32 v2, vcc, v2, v20
	s_waitcnt lgkmcnt(2)
	v_and_b32_e32 v18, 1, v5
	v_addc_co_u32_e32 v3, vcc, 0, v3, vcc
	;; [unrolled: 4-line block ×4, first 2 shown]
	v_add_co_u32_e32 v28, vcc, v2, v19
	v_mbcnt_lo_u32_b32 v2, -1, 0
	v_mbcnt_hi_u32_b32 v21, -1, v2
	v_addc_co_u32_e32 v29, vcc, 0, v3, vcc
	v_and_b32_e32 v27, 15, v21
	s_cmp_lg_u32 s6, 0
	v_mov_b32_e32 v1, 0
	v_cmp_eq_u32_e64 s[2:3], 0, v27
	v_cmp_lt_u32_e64 s[0:1], 1, v27
	v_cmp_lt_u32_e64 s[10:11], 3, v27
	;; [unrolled: 1-line block ×3, first 2 shown]
	v_and_b32_e32 v25, 16, v21
	v_cmp_eq_u32_e64 s[12:13], 0, v21
	v_cmp_ne_u32_e32 vcc, 0, v21
	s_barrier
	s_cbranch_scc0 .LBB4_51
; %bb.23:
	v_mov_b32_dpp v2, v28 row_shr:1 row_mask:0xf bank_mask:0xf
	v_add_co_u32_e64 v2, s[14:15], v28, v2
	v_addc_co_u32_e64 v3, s[14:15], 0, v29, s[14:15]
	v_mov_b32_dpp v1, v1 row_shr:1 row_mask:0xf bank_mask:0xf
	v_add_co_u32_e64 v4, s[14:15], 0, v2
	v_addc_co_u32_e64 v1, s[14:15], v1, v3, s[14:15]
	v_cndmask_b32_e64 v2, v2, v28, s[2:3]
	v_cndmask_b32_e64 v3, v1, 0, s[2:3]
	v_cndmask_b32_e64 v4, v4, v28, s[2:3]
	v_mov_b32_dpp v5, v2 row_shr:2 row_mask:0xf bank_mask:0xf
	v_cndmask_b32_e64 v1, v1, v29, s[2:3]
	v_mov_b32_dpp v6, v3 row_shr:2 row_mask:0xf bank_mask:0xf
	v_add_co_u32_e64 v5, s[14:15], v5, v4
	v_addc_co_u32_e64 v6, s[14:15], v6, v1, s[14:15]
	v_cndmask_b32_e64 v2, v2, v5, s[0:1]
	v_cndmask_b32_e64 v3, v3, v6, s[0:1]
	v_cndmask_b32_e64 v4, v4, v5, s[0:1]
	v_mov_b32_dpp v5, v2 row_shr:4 row_mask:0xf bank_mask:0xf
	v_cndmask_b32_e64 v1, v1, v6, s[0:1]
	;; [unrolled: 8-line block ×3, first 2 shown]
	v_mov_b32_dpp v6, v3 row_shr:8 row_mask:0xf bank_mask:0xf
	v_add_co_u32_e64 v5, s[10:11], v5, v4
	v_addc_co_u32_e64 v6, s[10:11], v6, v1, s[10:11]
	v_cndmask_b32_e64 v2, v2, v5, s[8:9]
	v_cndmask_b32_e64 v3, v3, v6, s[8:9]
	;; [unrolled: 1-line block ×3, first 2 shown]
	v_mov_b32_dpp v5, v2 row_bcast:15 row_mask:0xf bank_mask:0xf
	v_cndmask_b32_e64 v1, v1, v6, s[8:9]
	v_mov_b32_dpp v6, v3 row_bcast:15 row_mask:0xf bank_mask:0xf
	v_add_co_u32_e64 v5, s[8:9], v5, v4
	v_addc_co_u32_e64 v7, s[8:9], v6, v1, s[8:9]
	v_cmp_eq_u32_e64 s[8:9], 0, v25
	v_cndmask_b32_e64 v3, v7, v3, s[8:9]
	v_cndmask_b32_e64 v2, v5, v2, s[8:9]
	s_nop 0
	v_mov_b32_dpp v8, v3 row_bcast:31 row_mask:0xf bank_mask:0xf
	v_mov_b32_dpp v6, v2 row_bcast:31 row_mask:0xf bank_mask:0xf
	v_pk_mov_b32 v[2:3], v[28:29], v[28:29] op_sel:[0,1]
	s_and_saveexec_b64 s[10:11], vcc
; %bb.24:
	v_cmp_lt_u32_e32 vcc, 31, v21
	v_cndmask_b32_e64 v2, v5, v4, s[8:9]
	v_cndmask_b32_e32 v4, 0, v6, vcc
	v_cndmask_b32_e64 v1, v7, v1, s[8:9]
	v_cndmask_b32_e32 v3, 0, v8, vcc
	v_add_co_u32_e32 v2, vcc, v4, v2
	v_addc_co_u32_e32 v3, vcc, v3, v1, vcc
; %bb.25:
	s_or_b64 exec, exec, s[10:11]
	v_or_b32_e32 v4, 63, v0
	v_lshrrev_b32_e32 v1, 6, v0
	v_cmp_eq_u32_e32 vcc, v4, v0
	s_and_saveexec_b64 s[8:9], vcc
	s_cbranch_execz .LBB4_27
; %bb.26:
	v_lshlrev_b32_e32 v4, 3, v1
	ds_write_b64 v4, v[2:3]
.LBB4_27:
	s_or_b64 exec, exec, s[8:9]
	v_cmp_gt_u32_e32 vcc, 4, v0
	s_waitcnt lgkmcnt(0)
	s_barrier
	s_and_saveexec_b64 s[10:11], vcc
	s_cbranch_execz .LBB4_29
; %bb.28:
	v_lshlrev_b32_e32 v6, 3, v0
	ds_read_b64 v[4:5], v6
	v_and_b32_e32 v7, 3, v21
	v_cmp_ne_u32_e64 s[8:9], 1, v7
	s_waitcnt lgkmcnt(0)
	v_mov_b32_dpp v8, v4 row_shr:1 row_mask:0xf bank_mask:0xf
	v_add_co_u32_e32 v8, vcc, v4, v8
	v_addc_co_u32_e32 v30, vcc, 0, v5, vcc
	v_mov_b32_dpp v9, v5 row_shr:1 row_mask:0xf bank_mask:0xf
	v_add_co_u32_e32 v31, vcc, 0, v8
	v_addc_co_u32_e32 v9, vcc, v9, v30, vcc
	v_cmp_eq_u32_e32 vcc, 0, v7
	v_cndmask_b32_e32 v8, v8, v4, vcc
	v_cndmask_b32_e32 v30, v9, v5, vcc
	s_nop 0
	v_mov_b32_dpp v8, v8 row_shr:2 row_mask:0xf bank_mask:0xf
	v_mov_b32_dpp v30, v30 row_shr:2 row_mask:0xf bank_mask:0xf
	v_cndmask_b32_e64 v7, 0, v8, s[8:9]
	v_cndmask_b32_e64 v8, 0, v30, s[8:9]
	v_add_co_u32_e64 v7, s[8:9], v7, v31
	v_addc_co_u32_e64 v8, s[8:9], v8, v9, s[8:9]
	v_cndmask_b32_e32 v5, v8, v5, vcc
	v_cndmask_b32_e32 v4, v7, v4, vcc
	ds_write_b64 v6, v[4:5]
.LBB4_29:
	s_or_b64 exec, exec, s[10:11]
	v_cmp_gt_u32_e32 vcc, 64, v0
	v_cmp_lt_u32_e64 s[8:9], 63, v0
	s_waitcnt lgkmcnt(0)
	s_barrier
	s_waitcnt lgkmcnt(0)
                                        ; implicit-def: $vgpr30_vgpr31
	s_and_saveexec_b64 s[10:11], s[8:9]
	s_cbranch_execz .LBB4_31
; %bb.30:
	v_lshl_add_u32 v1, v1, 3, -8
	ds_read_b64 v[30:31], v1
	s_waitcnt lgkmcnt(0)
	v_add_co_u32_e64 v2, s[8:9], v30, v2
	v_addc_co_u32_e64 v3, s[8:9], v31, v3, s[8:9]
.LBB4_31:
	s_or_b64 exec, exec, s[10:11]
	v_add_u32_e32 v1, -1, v21
	v_and_b32_e32 v4, 64, v21
	v_cmp_lt_i32_e64 s[8:9], v1, v4
	v_cndmask_b32_e64 v1, v1, v21, s[8:9]
	v_lshlrev_b32_e32 v4, 2, v1
	ds_bpermute_b32 v1, v4, v2
	ds_bpermute_b32 v38, v4, v3
	s_and_saveexec_b64 s[14:15], vcc
	s_cbranch_execz .LBB4_50
; %bb.32:
	v_mov_b32_e32 v5, 0
	ds_read_b64 v[2:3], v5 offset:24
	s_and_saveexec_b64 s[8:9], s[12:13]
	s_cbranch_execz .LBB4_34
; %bb.33:
	s_add_i32 s10, s6, 64
	s_mov_b32 s11, 0
	s_lshl_b64 s[10:11], s[10:11], 4
	s_add_u32 s10, s24, s10
	s_addc_u32 s11, s25, s11
	v_mov_b32_e32 v4, 1
	v_pk_mov_b32 v[6:7], s[10:11], s[10:11] op_sel:[0,1]
	s_waitcnt lgkmcnt(0)
	;;#ASMSTART
	global_store_dwordx4 v[6:7], v[2:5] off	
s_waitcnt vmcnt(0)
	;;#ASMEND
.LBB4_34:
	s_or_b64 exec, exec, s[8:9]
	v_xad_u32 v32, v21, -1, s6
	v_add_u32_e32 v4, 64, v32
	v_lshlrev_b64 v[6:7], 4, v[4:5]
	v_mov_b32_e32 v4, s25
	v_add_co_u32_e32 v34, vcc, s24, v6
	v_addc_co_u32_e32 v35, vcc, v4, v7, vcc
	;;#ASMSTART
	global_load_dwordx4 v[6:9], v[34:35] off glc	
s_waitcnt vmcnt(0)
	;;#ASMEND
	v_and_b32_e32 v4, 0xff, v7
	v_and_b32_e32 v9, 0xff00, v7
	;; [unrolled: 1-line block ×3, first 2 shown]
	v_or3_b32 v4, 0, v4, v9
	v_or3_b32 v6, v6, 0, 0
	v_and_b32_e32 v7, 0xff000000, v7
	v_or3_b32 v7, v4, v33, v7
	v_or3_b32 v6, v6, 0, 0
	v_cmp_eq_u16_sdwa s[10:11], v8, v5 src0_sel:BYTE_0 src1_sel:DWORD
	s_and_saveexec_b64 s[8:9], s[10:11]
	s_cbranch_execz .LBB4_38
; %bb.35:
	s_mov_b64 s[10:11], 0
	v_mov_b32_e32 v4, 0
.LBB4_36:                               ; =>This Inner Loop Header: Depth=1
	;;#ASMSTART
	global_load_dwordx4 v[6:9], v[34:35] off glc	
s_waitcnt vmcnt(0)
	;;#ASMEND
	v_cmp_ne_u16_sdwa s[26:27], v8, v4 src0_sel:BYTE_0 src1_sel:DWORD
	s_or_b64 s[10:11], s[26:27], s[10:11]
	s_andn2_b64 exec, exec, s[10:11]
	s_cbranch_execnz .LBB4_36
; %bb.37:
	s_or_b64 exec, exec, s[10:11]
.LBB4_38:
	s_or_b64 exec, exec, s[8:9]
	v_and_b32_e32 v40, 63, v21
	v_mov_b32_e32 v39, 2
	v_cmp_ne_u32_e32 vcc, 63, v40
	v_cmp_eq_u16_sdwa s[8:9], v8, v39 src0_sel:BYTE_0 src1_sel:DWORD
	v_lshlrev_b64 v[34:35], v21, -1
	v_addc_co_u32_e32 v9, vcc, 0, v21, vcc
	v_and_b32_e32 v4, s9, v35
	v_lshlrev_b32_e32 v41, 2, v9
	v_or_b32_e32 v4, 0x80000000, v4
	ds_bpermute_b32 v9, v41, v6
	v_and_b32_e32 v5, s8, v34
	v_ffbl_b32_e32 v4, v4
	v_add_u32_e32 v4, 32, v4
	v_ffbl_b32_e32 v5, v5
	v_min_u32_e32 v4, v5, v4
	ds_bpermute_b32 v5, v41, v7
	s_waitcnt lgkmcnt(1)
	v_add_co_u32_e32 v9, vcc, v6, v9
	v_addc_co_u32_e32 v36, vcc, 0, v7, vcc
	v_add_co_u32_e32 v37, vcc, 0, v9
	v_cmp_gt_u32_e64 s[8:9], 62, v40
	s_waitcnt lgkmcnt(0)
	v_addc_co_u32_e32 v5, vcc, v5, v36, vcc
	v_cndmask_b32_e64 v36, 0, 1, s[8:9]
	v_cmp_lt_u32_e32 vcc, v40, v4
	v_lshlrev_b32_e32 v36, 1, v36
	v_cndmask_b32_e32 v9, v6, v9, vcc
	v_add_lshl_u32 v42, v36, v21, 2
	v_cndmask_b32_e32 v5, v7, v5, vcc
	ds_bpermute_b32 v36, v42, v9
	ds_bpermute_b32 v44, v42, v5
	v_cndmask_b32_e32 v37, v6, v37, vcc
	v_add_u32_e32 v43, 2, v40
	v_cmp_gt_u32_e64 s[10:11], 60, v40
	s_waitcnt lgkmcnt(1)
	v_add_co_u32_e64 v36, s[8:9], v36, v37
	s_waitcnt lgkmcnt(0)
	v_addc_co_u32_e64 v44, s[8:9], v44, v5, s[8:9]
	v_cmp_gt_u32_e64 s[8:9], v43, v4
	v_cndmask_b32_e64 v5, v44, v5, s[8:9]
	v_cndmask_b32_e64 v44, 0, 1, s[10:11]
	v_lshlrev_b32_e32 v44, 2, v44
	v_cndmask_b32_e64 v9, v36, v9, s[8:9]
	v_add_lshl_u32 v44, v44, v21, 2
	ds_bpermute_b32 v46, v44, v9
	v_cndmask_b32_e64 v36, v36, v37, s[8:9]
	ds_bpermute_b32 v37, v44, v5
	v_add_u32_e32 v45, 4, v40
	v_cmp_gt_u32_e64 s[10:11], 56, v40
	s_waitcnt lgkmcnt(1)
	v_add_co_u32_e64 v47, s[8:9], v46, v36
	s_waitcnt lgkmcnt(0)
	v_addc_co_u32_e64 v37, s[8:9], v37, v5, s[8:9]
	v_cmp_gt_u32_e64 s[8:9], v45, v4
	v_cndmask_b32_e64 v5, v37, v5, s[8:9]
	v_cndmask_b32_e64 v37, 0, 1, s[10:11]
	v_lshlrev_b32_e32 v37, 3, v37
	v_cndmask_b32_e64 v9, v47, v9, s[8:9]
	v_add_lshl_u32 v46, v37, v21, 2
	ds_bpermute_b32 v37, v46, v9
	ds_bpermute_b32 v48, v46, v5
	v_cndmask_b32_e64 v36, v47, v36, s[8:9]
	v_add_u32_e32 v47, 8, v40
	v_cmp_gt_u32_e64 s[10:11], 48, v40
	s_waitcnt lgkmcnt(1)
	v_add_co_u32_e64 v37, s[8:9], v37, v36
	s_waitcnt lgkmcnt(0)
	v_addc_co_u32_e64 v48, s[8:9], v48, v5, s[8:9]
	v_cmp_gt_u32_e64 s[8:9], v47, v4
	v_cndmask_b32_e64 v5, v48, v5, s[8:9]
	v_cndmask_b32_e64 v48, 0, 1, s[10:11]
	v_lshlrev_b32_e32 v48, 4, v48
	v_cndmask_b32_e64 v9, v37, v9, s[8:9]
	v_add_lshl_u32 v48, v48, v21, 2
	ds_bpermute_b32 v50, v48, v9
	v_cndmask_b32_e64 v36, v37, v36, s[8:9]
	ds_bpermute_b32 v37, v48, v5
	v_cmp_gt_u32_e64 s[10:11], 32, v40
	v_add_u32_e32 v49, 16, v40
	s_waitcnt lgkmcnt(1)
	v_add_co_u32_e64 v52, s[8:9], v50, v36
	s_waitcnt lgkmcnt(0)
	v_addc_co_u32_e64 v37, s[8:9], v37, v5, s[8:9]
	v_cndmask_b32_e64 v50, 0, 1, s[10:11]
	v_cmp_gt_u32_e64 s[8:9], v49, v4
	v_lshlrev_b32_e32 v50, 5, v50
	v_cndmask_b32_e64 v9, v52, v9, s[8:9]
	v_add_lshl_u32 v50, v50, v21, 2
	v_cndmask_b32_e64 v5, v37, v5, s[8:9]
	ds_bpermute_b32 v9, v50, v9
	ds_bpermute_b32 v37, v50, v5
	v_add_u32_e32 v51, 32, v40
	v_cndmask_b32_e64 v36, v52, v36, s[8:9]
	v_cmp_le_u32_e64 s[8:9], v51, v4
	s_waitcnt lgkmcnt(1)
	v_cndmask_b32_e64 v9, 0, v9, s[8:9]
	s_waitcnt lgkmcnt(0)
	v_cndmask_b32_e64 v4, 0, v37, s[8:9]
	v_add_co_u32_e64 v9, s[8:9], v9, v36
	v_addc_co_u32_e64 v4, s[8:9], v4, v5, s[8:9]
	v_mov_b32_e32 v33, 0
	v_cndmask_b32_e32 v7, v7, v4, vcc
	v_cndmask_b32_e32 v6, v6, v9, vcc
	s_branch .LBB4_40
.LBB4_39:                               ;   in Loop: Header=BB4_40 Depth=1
	s_or_b64 exec, exec, s[8:9]
	v_cmp_eq_u16_sdwa s[8:9], v8, v39 src0_sel:BYTE_0 src1_sel:DWORD
	v_and_b32_e32 v9, s9, v35
	v_or_b32_e32 v9, 0x80000000, v9
	ds_bpermute_b32 v37, v41, v6
	v_and_b32_e32 v36, s8, v34
	v_ffbl_b32_e32 v9, v9
	v_add_u32_e32 v9, 32, v9
	v_ffbl_b32_e32 v36, v36
	v_min_u32_e32 v9, v36, v9
	ds_bpermute_b32 v36, v41, v7
	s_waitcnt lgkmcnt(1)
	v_add_co_u32_e32 v37, vcc, v6, v37
	v_addc_co_u32_e32 v52, vcc, 0, v7, vcc
	v_add_co_u32_e32 v53, vcc, 0, v37
	s_waitcnt lgkmcnt(0)
	v_addc_co_u32_e32 v36, vcc, v36, v52, vcc
	v_cmp_lt_u32_e32 vcc, v40, v9
	v_cndmask_b32_e32 v37, v6, v37, vcc
	ds_bpermute_b32 v52, v42, v37
	v_cndmask_b32_e32 v36, v7, v36, vcc
	ds_bpermute_b32 v54, v42, v36
	v_cndmask_b32_e32 v53, v6, v53, vcc
	v_subrev_u32_e32 v32, 64, v32
	s_waitcnt lgkmcnt(1)
	v_add_co_u32_e64 v52, s[8:9], v52, v53
	s_waitcnt lgkmcnt(0)
	v_addc_co_u32_e64 v54, s[8:9], v54, v36, s[8:9]
	v_cmp_gt_u32_e64 s[8:9], v43, v9
	v_cndmask_b32_e64 v37, v52, v37, s[8:9]
	ds_bpermute_b32 v55, v44, v37
	v_cndmask_b32_e64 v36, v54, v36, s[8:9]
	ds_bpermute_b32 v54, v44, v36
	v_cndmask_b32_e64 v52, v52, v53, s[8:9]
	s_waitcnt lgkmcnt(1)
	v_add_co_u32_e64 v53, s[8:9], v55, v52
	s_waitcnt lgkmcnt(0)
	v_addc_co_u32_e64 v54, s[8:9], v54, v36, s[8:9]
	v_cmp_gt_u32_e64 s[8:9], v45, v9
	v_cndmask_b32_e64 v37, v53, v37, s[8:9]
	ds_bpermute_b32 v55, v46, v37
	v_cndmask_b32_e64 v36, v54, v36, s[8:9]
	ds_bpermute_b32 v54, v46, v36
	v_cndmask_b32_e64 v52, v53, v52, s[8:9]
	;; [unrolled: 10-line block ×3, first 2 shown]
	s_waitcnt lgkmcnt(1)
	v_add_co_u32_e64 v53, s[8:9], v55, v52
	s_waitcnt lgkmcnt(0)
	v_addc_co_u32_e64 v54, s[8:9], v54, v36, s[8:9]
	v_cmp_gt_u32_e64 s[8:9], v49, v9
	v_cndmask_b32_e64 v37, v53, v37, s[8:9]
	v_cndmask_b32_e64 v36, v54, v36, s[8:9]
	ds_bpermute_b32 v37, v50, v37
	ds_bpermute_b32 v54, v50, v36
	v_cndmask_b32_e64 v52, v53, v52, s[8:9]
	v_cmp_le_u32_e64 s[8:9], v51, v9
	s_waitcnt lgkmcnt(1)
	v_cndmask_b32_e64 v37, 0, v37, s[8:9]
	s_waitcnt lgkmcnt(0)
	v_cndmask_b32_e64 v9, 0, v54, s[8:9]
	v_add_co_u32_e64 v37, s[8:9], v37, v52
	v_addc_co_u32_e64 v9, s[8:9], v9, v36, s[8:9]
	v_cndmask_b32_e32 v6, v6, v37, vcc
	v_cndmask_b32_e32 v7, v7, v9, vcc
	v_add_co_u32_e32 v6, vcc, v6, v4
	v_addc_co_u32_e32 v7, vcc, v7, v5, vcc
.LBB4_40:                               ; =>This Loop Header: Depth=1
                                        ;     Child Loop BB4_43 Depth 2
	v_cmp_ne_u16_sdwa s[8:9], v8, v39 src0_sel:BYTE_0 src1_sel:DWORD
	v_cndmask_b32_e64 v4, 0, 1, s[8:9]
	;;#ASMSTART
	;;#ASMEND
	v_cmp_ne_u32_e32 vcc, 0, v4
	s_cmp_lg_u64 vcc, exec
	v_pk_mov_b32 v[4:5], v[6:7], v[6:7] op_sel:[0,1]
	s_cbranch_scc1 .LBB4_45
; %bb.41:                               ;   in Loop: Header=BB4_40 Depth=1
	v_lshlrev_b64 v[6:7], 4, v[32:33]
	v_mov_b32_e32 v8, s25
	v_add_co_u32_e32 v36, vcc, s24, v6
	v_addc_co_u32_e32 v37, vcc, v8, v7, vcc
	;;#ASMSTART
	global_load_dwordx4 v[6:9], v[36:37] off glc	
s_waitcnt vmcnt(0)
	;;#ASMEND
	v_and_b32_e32 v9, 0xff, v7
	v_and_b32_e32 v52, 0xff00, v7
	;; [unrolled: 1-line block ×3, first 2 shown]
	v_or3_b32 v9, 0, v9, v52
	v_or3_b32 v6, v6, 0, 0
	v_and_b32_e32 v7, 0xff000000, v7
	v_or3_b32 v7, v9, v53, v7
	v_or3_b32 v6, v6, 0, 0
	v_cmp_eq_u16_sdwa s[10:11], v8, v33 src0_sel:BYTE_0 src1_sel:DWORD
	s_and_saveexec_b64 s[8:9], s[10:11]
	s_cbranch_execz .LBB4_39
; %bb.42:                               ;   in Loop: Header=BB4_40 Depth=1
	s_mov_b64 s[10:11], 0
.LBB4_43:                               ;   Parent Loop BB4_40 Depth=1
                                        ; =>  This Inner Loop Header: Depth=2
	;;#ASMSTART
	global_load_dwordx4 v[6:9], v[36:37] off glc	
s_waitcnt vmcnt(0)
	;;#ASMEND
	v_cmp_ne_u16_sdwa s[26:27], v8, v33 src0_sel:BYTE_0 src1_sel:DWORD
	s_or_b64 s[10:11], s[26:27], s[10:11]
	s_andn2_b64 exec, exec, s[10:11]
	s_cbranch_execnz .LBB4_43
; %bb.44:                               ;   in Loop: Header=BB4_40 Depth=1
	s_or_b64 exec, exec, s[10:11]
	s_branch .LBB4_39
.LBB4_45:                               ;   in Loop: Header=BB4_40 Depth=1
                                        ; implicit-def: $vgpr6_vgpr7
                                        ; implicit-def: $vgpr8
	s_cbranch_execz .LBB4_40
; %bb.46:
	s_and_saveexec_b64 s[8:9], s[12:13]
	s_cbranch_execz .LBB4_48
; %bb.47:
	s_add_i32 s6, s6, 64
	s_mov_b32 s7, 0
	s_lshl_b64 s[6:7], s[6:7], 4
	s_add_u32 s6, s24, s6
	v_add_co_u32_e32 v6, vcc, v4, v2
	s_addc_u32 s7, s25, s7
	v_addc_co_u32_e32 v7, vcc, v5, v3, vcc
	v_mov_b32_e32 v8, 2
	v_mov_b32_e32 v9, 0
	v_pk_mov_b32 v[32:33], s[6:7], s[6:7] op_sel:[0,1]
	;;#ASMSTART
	global_store_dwordx4 v[32:33], v[6:9] off	
s_waitcnt vmcnt(0)
	;;#ASMEND
	ds_write_b128 v9, v[2:5] offset:7168
.LBB4_48:
	s_or_b64 exec, exec, s[8:9]
	v_cmp_eq_u32_e32 vcc, 0, v0
	s_and_b64 exec, exec, vcc
	s_cbranch_execz .LBB4_50
; %bb.49:
	v_mov_b32_e32 v2, 0
	ds_write_b64 v2, v[4:5] offset:24
.LBB4_50:
	s_or_b64 exec, exec, s[14:15]
	v_mov_b32_e32 v5, 0
	s_waitcnt lgkmcnt(0)
	s_barrier
	ds_read_b64 v[2:3], v5 offset:24
	v_cndmask_b32_e64 v1, v1, v30, s[12:13]
	v_cmp_ne_u32_e32 vcc, 0, v0
	v_cndmask_b32_e64 v4, v38, v31, s[12:13]
	v_cndmask_b32_e32 v1, 0, v1, vcc
	v_cndmask_b32_e32 v4, 0, v4, vcc
	s_waitcnt lgkmcnt(0)
	v_add_co_u32_e32 v38, vcc, v2, v1
	v_addc_co_u32_e32 v39, vcc, v3, v4, vcc
	v_add_co_u32_e32 v36, vcc, v38, v26
	v_addc_co_u32_e32 v37, vcc, 0, v39, vcc
	v_add_co_u32_e32 v34, vcc, v36, v24
	v_addc_co_u32_e32 v35, vcc, 0, v37, vcc
	v_add_co_u32_e32 v32, vcc, v34, v22
	v_addc_co_u32_e32 v33, vcc, 0, v35, vcc
	v_add_co_u32_e32 v30, vcc, v32, v20
	s_barrier
	ds_read_b128 v[4:7], v5 offset:7168
	v_addc_co_u32_e32 v31, vcc, 0, v33, vcc
	v_add_co_u32_e32 v2, vcc, v30, v18
	v_addc_co_u32_e32 v3, vcc, 0, v31, vcc
	v_add_co_u32_e32 v8, vcc, v2, v16
	v_addc_co_u32_e32 v9, vcc, 0, v3, vcc
	s_waitcnt lgkmcnt(0)
	v_readfirstlane_b32 s9, v7
	v_readfirstlane_b32 s8, v6
	s_load_dwordx2 s[6:7], s[4:5], 0x30
	s_branch .LBB4_63
.LBB4_51:
                                        ; implicit-def: $sgpr8_sgpr9
                                        ; implicit-def: $vgpr4_vgpr5
                                        ; implicit-def: $vgpr8_vgpr9
                                        ; implicit-def: $vgpr2_vgpr3
                                        ; implicit-def: $vgpr30_vgpr31
                                        ; implicit-def: $vgpr32_vgpr33
                                        ; implicit-def: $vgpr34_vgpr35
                                        ; implicit-def: $vgpr36_vgpr37
                                        ; implicit-def: $vgpr38_vgpr39
	s_load_dwordx2 s[6:7], s[4:5], 0x30
	s_cbranch_execz .LBB4_63
; %bb.52:
	v_mov_b32_dpp v1, v28 row_shr:1 row_mask:0xf bank_mask:0xf
	v_add_co_u32_e32 v1, vcc, v28, v1
	v_mov_b32_e32 v2, 0
	v_addc_co_u32_e32 v3, vcc, 0, v29, vcc
	s_nop 0
	v_mov_b32_dpp v2, v2 row_shr:1 row_mask:0xf bank_mask:0xf
	v_add_co_u32_e32 v4, vcc, 0, v1
	v_addc_co_u32_e32 v2, vcc, v2, v3, vcc
	v_cndmask_b32_e64 v1, v1, v28, s[2:3]
	v_cndmask_b32_e64 v3, v2, 0, s[2:3]
	;; [unrolled: 1-line block ×3, first 2 shown]
	v_mov_b32_dpp v5, v1 row_shr:2 row_mask:0xf bank_mask:0xf
	v_cndmask_b32_e64 v2, v2, v29, s[2:3]
	v_mov_b32_dpp v6, v3 row_shr:2 row_mask:0xf bank_mask:0xf
	v_add_co_u32_e32 v5, vcc, v5, v4
	v_addc_co_u32_e32 v6, vcc, v6, v2, vcc
	v_cndmask_b32_e64 v1, v1, v5, s[0:1]
	v_cndmask_b32_e64 v3, v3, v6, s[0:1]
	;; [unrolled: 1-line block ×3, first 2 shown]
	v_mov_b32_dpp v5, v1 row_shr:4 row_mask:0xf bank_mask:0xf
	v_cndmask_b32_e64 v2, v2, v6, s[0:1]
	v_mov_b32_dpp v6, v3 row_shr:4 row_mask:0xf bank_mask:0xf
	v_add_co_u32_e32 v5, vcc, v5, v4
	v_addc_co_u32_e32 v6, vcc, v6, v2, vcc
	v_cmp_lt_u32_e32 vcc, 3, v27
	v_cndmask_b32_e32 v1, v1, v5, vcc
	v_cndmask_b32_e32 v3, v3, v6, vcc
	v_cndmask_b32_e32 v4, v4, v5, vcc
	v_mov_b32_dpp v5, v1 row_shr:8 row_mask:0xf bank_mask:0xf
	v_cndmask_b32_e32 v2, v2, v6, vcc
	v_mov_b32_dpp v6, v3 row_shr:8 row_mask:0xf bank_mask:0xf
	v_add_co_u32_e32 v5, vcc, v5, v4
	v_addc_co_u32_e32 v6, vcc, v6, v2, vcc
	v_cmp_lt_u32_e32 vcc, 7, v27
	v_cndmask_b32_e32 v8, v1, v5, vcc
	v_cndmask_b32_e32 v7, v3, v6, vcc
	;; [unrolled: 1-line block ×4, first 2 shown]
	v_mov_b32_dpp v3, v8 row_bcast:15 row_mask:0xf bank_mask:0xf
	v_mov_b32_dpp v4, v7 row_bcast:15 row_mask:0xf bank_mask:0xf
	v_add_co_u32_e32 v3, vcc, v3, v2
	v_addc_co_u32_e32 v5, vcc, v4, v1, vcc
	v_cmp_eq_u32_e64 s[0:1], 0, v25
	v_cndmask_b32_e64 v6, v5, v7, s[0:1]
	v_cndmask_b32_e64 v4, v3, v8, s[0:1]
	v_cmp_eq_u32_e32 vcc, 0, v21
	v_mov_b32_dpp v6, v6 row_bcast:31 row_mask:0xf bank_mask:0xf
	v_mov_b32_dpp v4, v4 row_bcast:31 row_mask:0xf bank_mask:0xf
	v_cmp_ne_u32_e64 s[2:3], 0, v21
	s_and_saveexec_b64 s[4:5], s[2:3]
; %bb.53:
	v_cndmask_b32_e64 v1, v5, v1, s[0:1]
	v_cndmask_b32_e64 v2, v3, v2, s[0:1]
	v_cmp_lt_u32_e64 s[0:1], 31, v21
	v_cndmask_b32_e64 v4, 0, v4, s[0:1]
	v_cndmask_b32_e64 v3, 0, v6, s[0:1]
	v_add_co_u32_e64 v28, s[0:1], v4, v2
	v_addc_co_u32_e64 v29, s[0:1], v3, v1, s[0:1]
; %bb.54:
	s_or_b64 exec, exec, s[4:5]
	v_or_b32_e32 v2, 63, v0
	v_lshrrev_b32_e32 v1, 6, v0
	v_cmp_eq_u32_e64 s[0:1], v2, v0
	s_and_saveexec_b64 s[2:3], s[0:1]
	s_cbranch_execz .LBB4_56
; %bb.55:
	v_lshlrev_b32_e32 v2, 3, v1
	ds_write_b64 v2, v[28:29]
.LBB4_56:
	s_or_b64 exec, exec, s[2:3]
	v_cmp_gt_u32_e64 s[0:1], 4, v0
	s_waitcnt lgkmcnt(0)
	s_barrier
	s_and_saveexec_b64 s[4:5], s[0:1]
	s_cbranch_execz .LBB4_58
; %bb.57:
	v_add_u32_e32 v4, v23, v0
	ds_read_b64 v[2:3], v4
	v_and_b32_e32 v5, 3, v21
	v_cmp_ne_u32_e64 s[2:3], 1, v5
	s_waitcnt lgkmcnt(0)
	v_mov_b32_dpp v6, v2 row_shr:1 row_mask:0xf bank_mask:0xf
	v_add_co_u32_e64 v6, s[0:1], v2, v6
	v_addc_co_u32_e64 v8, s[0:1], 0, v3, s[0:1]
	v_mov_b32_dpp v7, v3 row_shr:1 row_mask:0xf bank_mask:0xf
	v_add_co_u32_e64 v9, s[0:1], 0, v6
	v_addc_co_u32_e64 v7, s[0:1], v7, v8, s[0:1]
	v_cmp_eq_u32_e64 s[0:1], 0, v5
	v_cndmask_b32_e64 v6, v6, v2, s[0:1]
	v_cndmask_b32_e64 v8, v7, v3, s[0:1]
	s_nop 0
	v_mov_b32_dpp v6, v6 row_shr:2 row_mask:0xf bank_mask:0xf
	v_mov_b32_dpp v8, v8 row_shr:2 row_mask:0xf bank_mask:0xf
	v_cndmask_b32_e64 v5, 0, v6, s[2:3]
	v_cndmask_b32_e64 v6, 0, v8, s[2:3]
	v_add_co_u32_e64 v5, s[2:3], v5, v9
	v_addc_co_u32_e64 v6, s[2:3], v6, v7, s[2:3]
	v_cndmask_b32_e64 v3, v6, v3, s[0:1]
	v_cndmask_b32_e64 v2, v5, v2, s[0:1]
	ds_write_b64 v4, v[2:3]
.LBB4_58:
	s_or_b64 exec, exec, s[4:5]
	v_cmp_lt_u32_e64 s[0:1], 63, v0
	v_pk_mov_b32 v[2:3], 0, 0
	s_waitcnt lgkmcnt(0)
	s_barrier
	s_and_saveexec_b64 s[2:3], s[0:1]
	s_cbranch_execz .LBB4_60
; %bb.59:
	v_lshl_add_u32 v1, v1, 3, -8
	ds_read_b64 v[2:3], v1
.LBB4_60:
	s_or_b64 exec, exec, s[2:3]
	s_waitcnt lgkmcnt(0)
	v_add_co_u32_e64 v1, s[0:1], v2, v28
	v_addc_co_u32_e64 v4, s[0:1], v3, v29, s[0:1]
	v_add_u32_e32 v5, -1, v21
	v_and_b32_e32 v6, 64, v21
	v_cmp_lt_i32_e64 s[0:1], v5, v6
	v_cndmask_b32_e64 v5, v5, v21, s[0:1]
	v_lshlrev_b32_e32 v5, 2, v5
	v_mov_b32_e32 v7, 0
	ds_bpermute_b32 v1, v5, v1
	ds_bpermute_b32 v8, v5, v4
	ds_read_b64 v[4:5], v7 offset:24
	v_cmp_eq_u32_e64 s[0:1], 0, v0
	s_and_saveexec_b64 s[2:3], s[0:1]
	s_cbranch_execz .LBB4_62
; %bb.61:
	s_add_u32 s4, s24, 0x400
	s_addc_u32 s5, s25, 0
	v_mov_b32_e32 v6, 2
	v_pk_mov_b32 v[28:29], s[4:5], s[4:5] op_sel:[0,1]
	s_waitcnt lgkmcnt(0)
	;;#ASMSTART
	global_store_dwordx4 v[28:29], v[4:7] off	
s_waitcnt vmcnt(0)
	;;#ASMEND
.LBB4_62:
	s_or_b64 exec, exec, s[2:3]
	s_waitcnt lgkmcnt(2)
	v_cndmask_b32_e32 v1, v1, v2, vcc
	s_waitcnt lgkmcnt(1)
	v_cndmask_b32_e32 v2, v8, v3, vcc
	v_cndmask_b32_e64 v38, v1, 0, s[0:1]
	v_cndmask_b32_e64 v39, v2, 0, s[0:1]
	v_add_co_u32_e32 v36, vcc, v38, v26
	v_addc_co_u32_e32 v37, vcc, 0, v39, vcc
	v_add_co_u32_e32 v34, vcc, v36, v24
	v_addc_co_u32_e32 v35, vcc, 0, v37, vcc
	;; [unrolled: 2-line block ×6, first 2 shown]
	s_waitcnt lgkmcnt(0)
	s_barrier
	s_mov_b64 s[8:9], 0
.LBB4_63:
	s_mov_b64 s[0:1], 0x101
	v_cmp_gt_u64_e32 vcc, s[0:1], v[4:5]
	s_mov_b64 s[0:1], -1
	s_cbranch_vccnz .LBB4_67
; %bb.64:
	s_and_b64 vcc, exec, s[0:1]
	s_cbranch_vccnz .LBB4_89
.LBB4_65:
	v_cmp_eq_u32_e32 vcc, 0, v0
	s_and_b64 s[0:1], vcc, s[20:21]
	s_and_saveexec_b64 s[2:3], s[0:1]
	s_cbranch_execnz .LBB4_108
.LBB4_66:
	s_endpgm
.LBB4_67:
	v_mov_b32_e32 v1, s9
	v_add_co_u32_e32 v6, vcc, s8, v4
	v_addc_co_u32_e32 v7, vcc, v1, v5, vcc
	s_lshl_b64 s[0:1], s[18:19], 2
	s_waitcnt lgkmcnt(0)
	s_add_u32 s2, s6, s0
	v_cmp_lt_u64_e32 vcc, v[38:39], v[6:7]
	s_addc_u32 s3, s7, s1
	s_or_b64 s[4:5], s[22:23], vcc
	s_and_saveexec_b64 s[0:1], s[4:5]
	s_cbranch_execz .LBB4_70
; %bb.68:
	v_cmp_eq_u32_e32 vcc, 1, v26
	s_and_b64 exec, exec, vcc
	s_cbranch_execz .LBB4_70
; %bb.69:
	v_lshlrev_b64 v[28:29], 2, v[38:39]
	v_mov_b32_e32 v1, s3
	v_add_co_u32_e32 v28, vcc, s2, v28
	v_addc_co_u32_e32 v29, vcc, v1, v29, vcc
	global_store_dword v[28:29], v14, off
.LBB4_70:
	s_or_b64 exec, exec, s[0:1]
	v_cmp_lt_u64_e32 vcc, v[36:37], v[6:7]
	s_or_b64 s[4:5], s[22:23], vcc
	s_and_saveexec_b64 s[0:1], s[4:5]
	s_cbranch_execz .LBB4_73
; %bb.71:
	v_cmp_eq_u32_e32 vcc, 1, v24
	s_and_b64 exec, exec, vcc
	s_cbranch_execz .LBB4_73
; %bb.72:
	v_lshlrev_b64 v[28:29], 2, v[36:37]
	v_mov_b32_e32 v1, s3
	v_add_co_u32_e32 v28, vcc, s2, v28
	v_addc_co_u32_e32 v29, vcc, v1, v29, vcc
	global_store_dword v[28:29], v15, off
.LBB4_73:
	s_or_b64 exec, exec, s[0:1]
	v_cmp_lt_u64_e32 vcc, v[34:35], v[6:7]
	;; [unrolled: 16-line block ×6, first 2 shown]
	s_or_b64 s[4:5], s[22:23], vcc
	s_and_saveexec_b64 s[0:1], s[4:5]
	s_cbranch_execz .LBB4_88
; %bb.86:
	v_cmp_eq_u32_e32 vcc, 1, v19
	s_and_b64 exec, exec, vcc
	s_cbranch_execz .LBB4_88
; %bb.87:
	v_lshlrev_b64 v[6:7], 2, v[8:9]
	v_mov_b32_e32 v1, s3
	v_add_co_u32_e32 v6, vcc, s2, v6
	v_addc_co_u32_e32 v7, vcc, v1, v7, vcc
	global_store_dword v[6:7], v17, off
.LBB4_88:
	s_or_b64 exec, exec, s[0:1]
	s_branch .LBB4_65
.LBB4_89:
	v_cmp_eq_u32_e32 vcc, 1, v26
	s_and_saveexec_b64 s[0:1], vcc
	s_cbranch_execnz .LBB4_109
; %bb.90:
	s_or_b64 exec, exec, s[0:1]
	v_cmp_eq_u32_e32 vcc, 1, v24
	s_and_saveexec_b64 s[0:1], vcc
	s_cbranch_execnz .LBB4_110
.LBB4_91:
	s_or_b64 exec, exec, s[0:1]
	v_cmp_eq_u32_e32 vcc, 1, v22
	s_and_saveexec_b64 s[0:1], vcc
	s_cbranch_execnz .LBB4_111
.LBB4_92:
	s_or_b64 exec, exec, s[0:1]
	v_cmp_eq_u32_e32 vcc, 1, v20
	s_and_saveexec_b64 s[0:1], vcc
	s_cbranch_execnz .LBB4_112
.LBB4_93:
	s_or_b64 exec, exec, s[0:1]
	v_cmp_eq_u32_e32 vcc, 1, v18
	s_and_saveexec_b64 s[0:1], vcc
	s_cbranch_execnz .LBB4_113
.LBB4_94:
	s_or_b64 exec, exec, s[0:1]
	v_cmp_eq_u32_e32 vcc, 1, v16
	s_and_saveexec_b64 s[0:1], vcc
	s_cbranch_execnz .LBB4_114
.LBB4_95:
	s_or_b64 exec, exec, s[0:1]
	v_cmp_eq_u32_e32 vcc, 1, v19
	s_and_saveexec_b64 s[0:1], vcc
	s_cbranch_execz .LBB4_97
.LBB4_96:
	v_subrev_u32_e32 v1, s8, v8
	v_lshlrev_b32_e32 v1, 2, v1
	ds_write_b32 v1, v17
.LBB4_97:
	s_or_b64 exec, exec, s[0:1]
	v_mov_b32_e32 v1, 0
	v_cmp_gt_u64_e32 vcc, v[4:5], v[0:1]
	s_waitcnt lgkmcnt(0)
	s_barrier
	s_and_saveexec_b64 s[10:11], vcc
	s_cbranch_execz .LBB4_107
; %bb.98:
	v_not_b32_e32 v3, v0
	v_not_b32_e32 v2, 0
	v_add_co_u32_e32 v6, vcc, v4, v3
	v_addc_co_u32_e32 v7, vcc, v5, v2, vcc
	s_mov_b64 s[0:1], 0x2f00
	s_mov_b64 s[2:3], 0x2eff
	v_cmp_gt_u64_e64 s[0:1], s[0:1], v[6:7]
	v_cmp_lt_u64_e32 vcc, s[2:3], v[6:7]
	v_mov_b32_e32 v8, v0
	v_pk_mov_b32 v[2:3], v[0:1], v[0:1] op_sel:[0,1]
	s_and_saveexec_b64 s[12:13], vcc
	s_cbranch_execz .LBB4_104
; %bb.99:
	v_alignbit_b32 v2, v7, v6, 8
	s_mov_b32 s2, 0xffffff
	s_mov_b32 s4, -1
	v_lshlrev_b32_e32 v3, 8, v2
	v_cmp_lt_u32_e32 vcc, s2, v2
	v_not_b32_e32 v2, v0
	s_movk_i32 s5, 0xff
	v_cmp_gt_u32_e64 s[2:3], v3, v2
	v_xor_b32_e32 v2, 0xfffffeff, v0
	v_cmp_lt_u64_e64 s[4:5], s[4:5], v[6:7]
	s_or_b64 s[14:15], s[2:3], vcc
	v_cmp_lt_u32_e64 s[2:3], v2, v3
	s_or_b64 s[4:5], vcc, s[4:5]
	s_or_b64 s[2:3], s[4:5], s[2:3]
	s_or_b64 s[4:5], s[14:15], s[2:3]
	s_mov_b64 s[2:3], -1
	s_xor_b64 s[14:15], s[4:5], -1
	v_mov_b32_e32 v8, v0
	v_pk_mov_b32 v[2:3], v[0:1], v[0:1] op_sel:[0,1]
	s_and_saveexec_b64 s[4:5], s[14:15]
	s_cbranch_execz .LBB4_103
; %bb.100:
	s_lshl_b64 s[2:3], s[8:9], 2
	s_lshl_b64 s[14:15], s[18:19], 2
	s_add_u32 s2, s2, s14
	v_lshrrev_b64 v[2:3], 8, v[6:7]
	s_addc_u32 s3, s3, s15
	v_add_co_u32_e32 v10, vcc, 1, v2
	s_add_u32 s2, s6, s2
	v_addc_co_u32_e32 v11, vcc, 0, v3, vcc
	v_lshlrev_b32_e32 v6, 2, v0
	s_addc_u32 s3, s7, s3
	v_mov_b32_e32 v7, s3
	v_add_co_u32_e32 v6, vcc, s2, v6
	v_addc_co_u32_e32 v7, vcc, 0, v7, vcc
	s_movk_i32 s2, 0x400
	v_or_b32_e32 v2, 0x100, v0
	v_mov_b32_e32 v3, v1
	v_add_co_u32_e32 v14, vcc, s2, v6
	v_and_b32_e32 v12, -2, v10
	v_mov_b32_e32 v13, v11
	v_addc_co_u32_e32 v15, vcc, 0, v7, vcc
	v_pk_mov_b32 v[8:9], v[2:3], v[2:3] op_sel:[0,1]
	s_mov_b64 s[14:15], 0
	v_pk_mov_b32 v[16:17], v[12:13], v[12:13] op_sel:[0,1]
	v_pk_mov_b32 v[6:7], v[0:1], v[0:1] op_sel:[0,1]
.LBB4_101:                              ; =>This Inner Loop Header: Depth=1
	v_lshlrev_b32_e32 v1, 2, v6
	v_lshlrev_b32_e32 v2, 2, v8
	ds_read_b32 v1, v1
	ds_read_b32 v2, v2
	v_add_co_u32_e32 v8, vcc, 0x200, v8
	v_addc_co_u32_e32 v9, vcc, 0, v9, vcc
	v_add_co_u32_e64 v16, s[2:3], -2, v16
	v_add_co_u32_e32 v6, vcc, 0x200, v6
	v_addc_co_u32_e64 v17, s[2:3], -1, v17, s[2:3]
	v_addc_co_u32_e32 v7, vcc, 0, v7, vcc
	v_cmp_eq_u64_e64 s[2:3], 0, v[16:17]
	s_waitcnt lgkmcnt(1)
	global_store_dword v[14:15], v1, off offset:-1024
	s_waitcnt lgkmcnt(0)
	global_store_dword v[14:15], v2, off
	v_add_co_u32_e32 v14, vcc, 0x800, v14
	s_or_b64 s[14:15], s[2:3], s[14:15]
	v_addc_co_u32_e32 v15, vcc, 0, v15, vcc
	s_andn2_b64 exec, exec, s[14:15]
	s_cbranch_execnz .LBB4_101
; %bb.102:
	s_or_b64 exec, exec, s[14:15]
	v_lshlrev_b64 v[2:3], 8, v[12:13]
	v_cmp_ne_u64_e32 vcc, v[10:11], v[12:13]
	v_or_b32_e32 v3, 0, v3
	v_or_b32_e32 v2, v2, v0
	v_lshl_or_b32 v8, v12, 8, v0
	s_orn2_b64 s[2:3], vcc, exec
.LBB4_103:
	s_or_b64 exec, exec, s[4:5]
	s_andn2_b64 s[0:1], s[0:1], exec
	s_and_b64 s[2:3], s[2:3], exec
	s_or_b64 s[0:1], s[0:1], s[2:3]
.LBB4_104:
	s_or_b64 exec, exec, s[12:13]
	s_and_b64 exec, exec, s[0:1]
	s_cbranch_execz .LBB4_107
; %bb.105:
	s_lshl_b64 s[0:1], s[8:9], 2
	s_add_u32 s2, s6, s0
	s_addc_u32 s3, s7, s1
	s_lshl_b64 s[0:1], s[18:19], 2
	s_add_u32 s4, s2, s0
	s_addc_u32 s0, s3, s1
	v_add_u32_e32 v6, 0x100, v8
	s_mov_b64 s[2:3], 0
	v_mov_b32_e32 v1, s0
	v_mov_b32_e32 v7, 0
.LBB4_106:                              ; =>This Inner Loop Header: Depth=1
	v_lshlrev_b32_e32 v10, 2, v2
	ds_read_b32 v10, v10
	v_lshlrev_b64 v[8:9], 2, v[2:3]
	v_cmp_le_u64_e32 vcc, v[4:5], v[6:7]
	v_add_co_u32_e64 v8, s[0:1], s4, v8
	v_pk_mov_b32 v[2:3], v[6:7], v[6:7] op_sel:[0,1]
	v_add_u32_e32 v6, 0x100, v6
	v_addc_co_u32_e64 v9, s[0:1], v1, v9, s[0:1]
	s_or_b64 s[2:3], vcc, s[2:3]
	s_waitcnt lgkmcnt(0)
	global_store_dword v[8:9], v10, off
	s_andn2_b64 exec, exec, s[2:3]
	s_cbranch_execnz .LBB4_106
.LBB4_107:
	s_or_b64 exec, exec, s[10:11]
	v_cmp_eq_u32_e32 vcc, 0, v0
	s_and_b64 s[0:1], vcc, s[20:21]
	s_and_saveexec_b64 s[2:3], s[0:1]
	s_cbranch_execz .LBB4_66
.LBB4_108:
	v_mov_b32_e32 v0, s9
	v_add_co_u32_e32 v1, vcc, s8, v4
	v_addc_co_u32_e32 v3, vcc, v0, v5, vcc
	v_mov_b32_e32 v4, s19
	v_add_co_u32_e32 v0, vcc, s18, v1
	v_mov_b32_e32 v2, 0
	v_addc_co_u32_e32 v1, vcc, v3, v4, vcc
	global_store_dwordx2 v2, v[0:1], s[16:17]
	s_endpgm
.LBB4_109:
	v_subrev_u32_e32 v1, s8, v38
	v_lshlrev_b32_e32 v1, 2, v1
	ds_write_b32 v1, v14
	s_or_b64 exec, exec, s[0:1]
	v_cmp_eq_u32_e32 vcc, 1, v24
	s_and_saveexec_b64 s[0:1], vcc
	s_cbranch_execz .LBB4_91
.LBB4_110:
	v_subrev_u32_e32 v1, s8, v36
	v_lshlrev_b32_e32 v1, 2, v1
	ds_write_b32 v1, v15
	s_or_b64 exec, exec, s[0:1]
	v_cmp_eq_u32_e32 vcc, 1, v22
	s_and_saveexec_b64 s[0:1], vcc
	s_cbranch_execz .LBB4_92
.LBB4_111:
	v_subrev_u32_e32 v1, s8, v34
	v_lshlrev_b32_e32 v1, 2, v1
	ds_write_b32 v1, v12
	s_or_b64 exec, exec, s[0:1]
	v_cmp_eq_u32_e32 vcc, 1, v20
	s_and_saveexec_b64 s[0:1], vcc
	s_cbranch_execz .LBB4_93
.LBB4_112:
	v_subrev_u32_e32 v1, s8, v32
	v_lshlrev_b32_e32 v1, 2, v1
	ds_write_b32 v1, v13
	s_or_b64 exec, exec, s[0:1]
	v_cmp_eq_u32_e32 vcc, 1, v18
	s_and_saveexec_b64 s[0:1], vcc
	s_cbranch_execz .LBB4_94
.LBB4_113:
	v_subrev_u32_e32 v1, s8, v30
	v_lshlrev_b32_e32 v1, 2, v1
	ds_write_b32 v1, v10
	s_or_b64 exec, exec, s[0:1]
	v_cmp_eq_u32_e32 vcc, 1, v16
	s_and_saveexec_b64 s[0:1], vcc
	s_cbranch_execz .LBB4_95
.LBB4_114:
	v_subrev_u32_e32 v1, s8, v2
	v_lshlrev_b32_e32 v1, 2, v1
	ds_write_b32 v1, v11
	s_or_b64 exec, exec, s[0:1]
	v_cmp_eq_u32_e32 vcc, 1, v19
	s_and_saveexec_b64 s[0:1], vcc
	s_cbranch_execnz .LBB4_96
	s_branch .LBB4_97
	.section	.rodata,"a",@progbits
	.p2align	6, 0x0
	.amdhsa_kernel _ZN7rocprim17ROCPRIM_400000_NS6detail17trampoline_kernelINS0_14default_configENS1_25partition_config_selectorILNS1_17partition_subalgoE5EiNS0_10empty_typeEbEEZZNS1_14partition_implILS5_5ELb0ES3_mN6thrust23THRUST_200600_302600_NS17counting_iteratorIiNSA_11use_defaultESC_SC_EEPS6_NSA_18transform_iteratorINSA_8identityIiEENSA_6detail15normal_iteratorINSA_10device_ptrIiEEEESC_SC_EENS0_5tupleIJSM_S6_EEENSO_IJSE_SE_EEES6_PlJS6_EEE10hipError_tPvRmT3_T4_T5_T6_T7_T9_mT8_P12ihipStream_tbDpT10_ENKUlT_T0_E_clISt17integral_constantIbLb0EES1B_EEDaS16_S17_EUlS16_E_NS1_11comp_targetILNS1_3genE4ELNS1_11target_archE910ELNS1_3gpuE8ELNS1_3repE0EEENS1_30default_config_static_selectorELNS0_4arch9wavefront6targetE1EEEvT1_
		.amdhsa_group_segment_fixed_size 7184
		.amdhsa_private_segment_fixed_size 0
		.amdhsa_kernarg_size 120
		.amdhsa_user_sgpr_count 6
		.amdhsa_user_sgpr_private_segment_buffer 1
		.amdhsa_user_sgpr_dispatch_ptr 0
		.amdhsa_user_sgpr_queue_ptr 0
		.amdhsa_user_sgpr_kernarg_segment_ptr 1
		.amdhsa_user_sgpr_dispatch_id 0
		.amdhsa_user_sgpr_flat_scratch_init 0
		.amdhsa_user_sgpr_kernarg_preload_length 0
		.amdhsa_user_sgpr_kernarg_preload_offset 0
		.amdhsa_user_sgpr_private_segment_size 0
		.amdhsa_uses_dynamic_stack 0
		.amdhsa_system_sgpr_private_segment_wavefront_offset 0
		.amdhsa_system_sgpr_workgroup_id_x 1
		.amdhsa_system_sgpr_workgroup_id_y 0
		.amdhsa_system_sgpr_workgroup_id_z 0
		.amdhsa_system_sgpr_workgroup_info 0
		.amdhsa_system_vgpr_workitem_id 0
		.amdhsa_next_free_vgpr 56
		.amdhsa_next_free_sgpr 28
		.amdhsa_accum_offset 56
		.amdhsa_reserve_vcc 1
		.amdhsa_reserve_flat_scratch 0
		.amdhsa_float_round_mode_32 0
		.amdhsa_float_round_mode_16_64 0
		.amdhsa_float_denorm_mode_32 3
		.amdhsa_float_denorm_mode_16_64 3
		.amdhsa_dx10_clamp 1
		.amdhsa_ieee_mode 1
		.amdhsa_fp16_overflow 0
		.amdhsa_tg_split 0
		.amdhsa_exception_fp_ieee_invalid_op 0
		.amdhsa_exception_fp_denorm_src 0
		.amdhsa_exception_fp_ieee_div_zero 0
		.amdhsa_exception_fp_ieee_overflow 0
		.amdhsa_exception_fp_ieee_underflow 0
		.amdhsa_exception_fp_ieee_inexact 0
		.amdhsa_exception_int_div_zero 0
	.end_amdhsa_kernel
	.section	.text._ZN7rocprim17ROCPRIM_400000_NS6detail17trampoline_kernelINS0_14default_configENS1_25partition_config_selectorILNS1_17partition_subalgoE5EiNS0_10empty_typeEbEEZZNS1_14partition_implILS5_5ELb0ES3_mN6thrust23THRUST_200600_302600_NS17counting_iteratorIiNSA_11use_defaultESC_SC_EEPS6_NSA_18transform_iteratorINSA_8identityIiEENSA_6detail15normal_iteratorINSA_10device_ptrIiEEEESC_SC_EENS0_5tupleIJSM_S6_EEENSO_IJSE_SE_EEES6_PlJS6_EEE10hipError_tPvRmT3_T4_T5_T6_T7_T9_mT8_P12ihipStream_tbDpT10_ENKUlT_T0_E_clISt17integral_constantIbLb0EES1B_EEDaS16_S17_EUlS16_E_NS1_11comp_targetILNS1_3genE4ELNS1_11target_archE910ELNS1_3gpuE8ELNS1_3repE0EEENS1_30default_config_static_selectorELNS0_4arch9wavefront6targetE1EEEvT1_,"axG",@progbits,_ZN7rocprim17ROCPRIM_400000_NS6detail17trampoline_kernelINS0_14default_configENS1_25partition_config_selectorILNS1_17partition_subalgoE5EiNS0_10empty_typeEbEEZZNS1_14partition_implILS5_5ELb0ES3_mN6thrust23THRUST_200600_302600_NS17counting_iteratorIiNSA_11use_defaultESC_SC_EEPS6_NSA_18transform_iteratorINSA_8identityIiEENSA_6detail15normal_iteratorINSA_10device_ptrIiEEEESC_SC_EENS0_5tupleIJSM_S6_EEENSO_IJSE_SE_EEES6_PlJS6_EEE10hipError_tPvRmT3_T4_T5_T6_T7_T9_mT8_P12ihipStream_tbDpT10_ENKUlT_T0_E_clISt17integral_constantIbLb0EES1B_EEDaS16_S17_EUlS16_E_NS1_11comp_targetILNS1_3genE4ELNS1_11target_archE910ELNS1_3gpuE8ELNS1_3repE0EEENS1_30default_config_static_selectorELNS0_4arch9wavefront6targetE1EEEvT1_,comdat
.Lfunc_end4:
	.size	_ZN7rocprim17ROCPRIM_400000_NS6detail17trampoline_kernelINS0_14default_configENS1_25partition_config_selectorILNS1_17partition_subalgoE5EiNS0_10empty_typeEbEEZZNS1_14partition_implILS5_5ELb0ES3_mN6thrust23THRUST_200600_302600_NS17counting_iteratorIiNSA_11use_defaultESC_SC_EEPS6_NSA_18transform_iteratorINSA_8identityIiEENSA_6detail15normal_iteratorINSA_10device_ptrIiEEEESC_SC_EENS0_5tupleIJSM_S6_EEENSO_IJSE_SE_EEES6_PlJS6_EEE10hipError_tPvRmT3_T4_T5_T6_T7_T9_mT8_P12ihipStream_tbDpT10_ENKUlT_T0_E_clISt17integral_constantIbLb0EES1B_EEDaS16_S17_EUlS16_E_NS1_11comp_targetILNS1_3genE4ELNS1_11target_archE910ELNS1_3gpuE8ELNS1_3repE0EEENS1_30default_config_static_selectorELNS0_4arch9wavefront6targetE1EEEvT1_, .Lfunc_end4-_ZN7rocprim17ROCPRIM_400000_NS6detail17trampoline_kernelINS0_14default_configENS1_25partition_config_selectorILNS1_17partition_subalgoE5EiNS0_10empty_typeEbEEZZNS1_14partition_implILS5_5ELb0ES3_mN6thrust23THRUST_200600_302600_NS17counting_iteratorIiNSA_11use_defaultESC_SC_EEPS6_NSA_18transform_iteratorINSA_8identityIiEENSA_6detail15normal_iteratorINSA_10device_ptrIiEEEESC_SC_EENS0_5tupleIJSM_S6_EEENSO_IJSE_SE_EEES6_PlJS6_EEE10hipError_tPvRmT3_T4_T5_T6_T7_T9_mT8_P12ihipStream_tbDpT10_ENKUlT_T0_E_clISt17integral_constantIbLb0EES1B_EEDaS16_S17_EUlS16_E_NS1_11comp_targetILNS1_3genE4ELNS1_11target_archE910ELNS1_3gpuE8ELNS1_3repE0EEENS1_30default_config_static_selectorELNS0_4arch9wavefront6targetE1EEEvT1_
                                        ; -- End function
	.section	.AMDGPU.csdata,"",@progbits
; Kernel info:
; codeLenInByte = 6372
; NumSgprs: 32
; NumVgprs: 56
; NumAgprs: 0
; TotalNumVgprs: 56
; ScratchSize: 0
; MemoryBound: 0
; FloatMode: 240
; IeeeMode: 1
; LDSByteSize: 7184 bytes/workgroup (compile time only)
; SGPRBlocks: 3
; VGPRBlocks: 6
; NumSGPRsForWavesPerEU: 32
; NumVGPRsForWavesPerEU: 56
; AccumOffset: 56
; Occupancy: 8
; WaveLimiterHint : 1
; COMPUTE_PGM_RSRC2:SCRATCH_EN: 0
; COMPUTE_PGM_RSRC2:USER_SGPR: 6
; COMPUTE_PGM_RSRC2:TRAP_HANDLER: 0
; COMPUTE_PGM_RSRC2:TGID_X_EN: 1
; COMPUTE_PGM_RSRC2:TGID_Y_EN: 0
; COMPUTE_PGM_RSRC2:TGID_Z_EN: 0
; COMPUTE_PGM_RSRC2:TIDIG_COMP_CNT: 0
; COMPUTE_PGM_RSRC3_GFX90A:ACCUM_OFFSET: 13
; COMPUTE_PGM_RSRC3_GFX90A:TG_SPLIT: 0
	.section	.text._ZN7rocprim17ROCPRIM_400000_NS6detail17trampoline_kernelINS0_14default_configENS1_25partition_config_selectorILNS1_17partition_subalgoE5EiNS0_10empty_typeEbEEZZNS1_14partition_implILS5_5ELb0ES3_mN6thrust23THRUST_200600_302600_NS17counting_iteratorIiNSA_11use_defaultESC_SC_EEPS6_NSA_18transform_iteratorINSA_8identityIiEENSA_6detail15normal_iteratorINSA_10device_ptrIiEEEESC_SC_EENS0_5tupleIJSM_S6_EEENSO_IJSE_SE_EEES6_PlJS6_EEE10hipError_tPvRmT3_T4_T5_T6_T7_T9_mT8_P12ihipStream_tbDpT10_ENKUlT_T0_E_clISt17integral_constantIbLb0EES1B_EEDaS16_S17_EUlS16_E_NS1_11comp_targetILNS1_3genE3ELNS1_11target_archE908ELNS1_3gpuE7ELNS1_3repE0EEENS1_30default_config_static_selectorELNS0_4arch9wavefront6targetE1EEEvT1_,"axG",@progbits,_ZN7rocprim17ROCPRIM_400000_NS6detail17trampoline_kernelINS0_14default_configENS1_25partition_config_selectorILNS1_17partition_subalgoE5EiNS0_10empty_typeEbEEZZNS1_14partition_implILS5_5ELb0ES3_mN6thrust23THRUST_200600_302600_NS17counting_iteratorIiNSA_11use_defaultESC_SC_EEPS6_NSA_18transform_iteratorINSA_8identityIiEENSA_6detail15normal_iteratorINSA_10device_ptrIiEEEESC_SC_EENS0_5tupleIJSM_S6_EEENSO_IJSE_SE_EEES6_PlJS6_EEE10hipError_tPvRmT3_T4_T5_T6_T7_T9_mT8_P12ihipStream_tbDpT10_ENKUlT_T0_E_clISt17integral_constantIbLb0EES1B_EEDaS16_S17_EUlS16_E_NS1_11comp_targetILNS1_3genE3ELNS1_11target_archE908ELNS1_3gpuE7ELNS1_3repE0EEENS1_30default_config_static_selectorELNS0_4arch9wavefront6targetE1EEEvT1_,comdat
	.protected	_ZN7rocprim17ROCPRIM_400000_NS6detail17trampoline_kernelINS0_14default_configENS1_25partition_config_selectorILNS1_17partition_subalgoE5EiNS0_10empty_typeEbEEZZNS1_14partition_implILS5_5ELb0ES3_mN6thrust23THRUST_200600_302600_NS17counting_iteratorIiNSA_11use_defaultESC_SC_EEPS6_NSA_18transform_iteratorINSA_8identityIiEENSA_6detail15normal_iteratorINSA_10device_ptrIiEEEESC_SC_EENS0_5tupleIJSM_S6_EEENSO_IJSE_SE_EEES6_PlJS6_EEE10hipError_tPvRmT3_T4_T5_T6_T7_T9_mT8_P12ihipStream_tbDpT10_ENKUlT_T0_E_clISt17integral_constantIbLb0EES1B_EEDaS16_S17_EUlS16_E_NS1_11comp_targetILNS1_3genE3ELNS1_11target_archE908ELNS1_3gpuE7ELNS1_3repE0EEENS1_30default_config_static_selectorELNS0_4arch9wavefront6targetE1EEEvT1_ ; -- Begin function _ZN7rocprim17ROCPRIM_400000_NS6detail17trampoline_kernelINS0_14default_configENS1_25partition_config_selectorILNS1_17partition_subalgoE5EiNS0_10empty_typeEbEEZZNS1_14partition_implILS5_5ELb0ES3_mN6thrust23THRUST_200600_302600_NS17counting_iteratorIiNSA_11use_defaultESC_SC_EEPS6_NSA_18transform_iteratorINSA_8identityIiEENSA_6detail15normal_iteratorINSA_10device_ptrIiEEEESC_SC_EENS0_5tupleIJSM_S6_EEENSO_IJSE_SE_EEES6_PlJS6_EEE10hipError_tPvRmT3_T4_T5_T6_T7_T9_mT8_P12ihipStream_tbDpT10_ENKUlT_T0_E_clISt17integral_constantIbLb0EES1B_EEDaS16_S17_EUlS16_E_NS1_11comp_targetILNS1_3genE3ELNS1_11target_archE908ELNS1_3gpuE7ELNS1_3repE0EEENS1_30default_config_static_selectorELNS0_4arch9wavefront6targetE1EEEvT1_
	.globl	_ZN7rocprim17ROCPRIM_400000_NS6detail17trampoline_kernelINS0_14default_configENS1_25partition_config_selectorILNS1_17partition_subalgoE5EiNS0_10empty_typeEbEEZZNS1_14partition_implILS5_5ELb0ES3_mN6thrust23THRUST_200600_302600_NS17counting_iteratorIiNSA_11use_defaultESC_SC_EEPS6_NSA_18transform_iteratorINSA_8identityIiEENSA_6detail15normal_iteratorINSA_10device_ptrIiEEEESC_SC_EENS0_5tupleIJSM_S6_EEENSO_IJSE_SE_EEES6_PlJS6_EEE10hipError_tPvRmT3_T4_T5_T6_T7_T9_mT8_P12ihipStream_tbDpT10_ENKUlT_T0_E_clISt17integral_constantIbLb0EES1B_EEDaS16_S17_EUlS16_E_NS1_11comp_targetILNS1_3genE3ELNS1_11target_archE908ELNS1_3gpuE7ELNS1_3repE0EEENS1_30default_config_static_selectorELNS0_4arch9wavefront6targetE1EEEvT1_
	.p2align	8
	.type	_ZN7rocprim17ROCPRIM_400000_NS6detail17trampoline_kernelINS0_14default_configENS1_25partition_config_selectorILNS1_17partition_subalgoE5EiNS0_10empty_typeEbEEZZNS1_14partition_implILS5_5ELb0ES3_mN6thrust23THRUST_200600_302600_NS17counting_iteratorIiNSA_11use_defaultESC_SC_EEPS6_NSA_18transform_iteratorINSA_8identityIiEENSA_6detail15normal_iteratorINSA_10device_ptrIiEEEESC_SC_EENS0_5tupleIJSM_S6_EEENSO_IJSE_SE_EEES6_PlJS6_EEE10hipError_tPvRmT3_T4_T5_T6_T7_T9_mT8_P12ihipStream_tbDpT10_ENKUlT_T0_E_clISt17integral_constantIbLb0EES1B_EEDaS16_S17_EUlS16_E_NS1_11comp_targetILNS1_3genE3ELNS1_11target_archE908ELNS1_3gpuE7ELNS1_3repE0EEENS1_30default_config_static_selectorELNS0_4arch9wavefront6targetE1EEEvT1_,@function
_ZN7rocprim17ROCPRIM_400000_NS6detail17trampoline_kernelINS0_14default_configENS1_25partition_config_selectorILNS1_17partition_subalgoE5EiNS0_10empty_typeEbEEZZNS1_14partition_implILS5_5ELb0ES3_mN6thrust23THRUST_200600_302600_NS17counting_iteratorIiNSA_11use_defaultESC_SC_EEPS6_NSA_18transform_iteratorINSA_8identityIiEENSA_6detail15normal_iteratorINSA_10device_ptrIiEEEESC_SC_EENS0_5tupleIJSM_S6_EEENSO_IJSE_SE_EEES6_PlJS6_EEE10hipError_tPvRmT3_T4_T5_T6_T7_T9_mT8_P12ihipStream_tbDpT10_ENKUlT_T0_E_clISt17integral_constantIbLb0EES1B_EEDaS16_S17_EUlS16_E_NS1_11comp_targetILNS1_3genE3ELNS1_11target_archE908ELNS1_3gpuE7ELNS1_3repE0EEENS1_30default_config_static_selectorELNS0_4arch9wavefront6targetE1EEEvT1_: ; @_ZN7rocprim17ROCPRIM_400000_NS6detail17trampoline_kernelINS0_14default_configENS1_25partition_config_selectorILNS1_17partition_subalgoE5EiNS0_10empty_typeEbEEZZNS1_14partition_implILS5_5ELb0ES3_mN6thrust23THRUST_200600_302600_NS17counting_iteratorIiNSA_11use_defaultESC_SC_EEPS6_NSA_18transform_iteratorINSA_8identityIiEENSA_6detail15normal_iteratorINSA_10device_ptrIiEEEESC_SC_EENS0_5tupleIJSM_S6_EEENSO_IJSE_SE_EEES6_PlJS6_EEE10hipError_tPvRmT3_T4_T5_T6_T7_T9_mT8_P12ihipStream_tbDpT10_ENKUlT_T0_E_clISt17integral_constantIbLb0EES1B_EEDaS16_S17_EUlS16_E_NS1_11comp_targetILNS1_3genE3ELNS1_11target_archE908ELNS1_3gpuE7ELNS1_3repE0EEENS1_30default_config_static_selectorELNS0_4arch9wavefront6targetE1EEEvT1_
; %bb.0:
	.section	.rodata,"a",@progbits
	.p2align	6, 0x0
	.amdhsa_kernel _ZN7rocprim17ROCPRIM_400000_NS6detail17trampoline_kernelINS0_14default_configENS1_25partition_config_selectorILNS1_17partition_subalgoE5EiNS0_10empty_typeEbEEZZNS1_14partition_implILS5_5ELb0ES3_mN6thrust23THRUST_200600_302600_NS17counting_iteratorIiNSA_11use_defaultESC_SC_EEPS6_NSA_18transform_iteratorINSA_8identityIiEENSA_6detail15normal_iteratorINSA_10device_ptrIiEEEESC_SC_EENS0_5tupleIJSM_S6_EEENSO_IJSE_SE_EEES6_PlJS6_EEE10hipError_tPvRmT3_T4_T5_T6_T7_T9_mT8_P12ihipStream_tbDpT10_ENKUlT_T0_E_clISt17integral_constantIbLb0EES1B_EEDaS16_S17_EUlS16_E_NS1_11comp_targetILNS1_3genE3ELNS1_11target_archE908ELNS1_3gpuE7ELNS1_3repE0EEENS1_30default_config_static_selectorELNS0_4arch9wavefront6targetE1EEEvT1_
		.amdhsa_group_segment_fixed_size 0
		.amdhsa_private_segment_fixed_size 0
		.amdhsa_kernarg_size 120
		.amdhsa_user_sgpr_count 6
		.amdhsa_user_sgpr_private_segment_buffer 1
		.amdhsa_user_sgpr_dispatch_ptr 0
		.amdhsa_user_sgpr_queue_ptr 0
		.amdhsa_user_sgpr_kernarg_segment_ptr 1
		.amdhsa_user_sgpr_dispatch_id 0
		.amdhsa_user_sgpr_flat_scratch_init 0
		.amdhsa_user_sgpr_kernarg_preload_length 0
		.amdhsa_user_sgpr_kernarg_preload_offset 0
		.amdhsa_user_sgpr_private_segment_size 0
		.amdhsa_uses_dynamic_stack 0
		.amdhsa_system_sgpr_private_segment_wavefront_offset 0
		.amdhsa_system_sgpr_workgroup_id_x 1
		.amdhsa_system_sgpr_workgroup_id_y 0
		.amdhsa_system_sgpr_workgroup_id_z 0
		.amdhsa_system_sgpr_workgroup_info 0
		.amdhsa_system_vgpr_workitem_id 0
		.amdhsa_next_free_vgpr 1
		.amdhsa_next_free_sgpr 0
		.amdhsa_accum_offset 4
		.amdhsa_reserve_vcc 0
		.amdhsa_reserve_flat_scratch 0
		.amdhsa_float_round_mode_32 0
		.amdhsa_float_round_mode_16_64 0
		.amdhsa_float_denorm_mode_32 3
		.amdhsa_float_denorm_mode_16_64 3
		.amdhsa_dx10_clamp 1
		.amdhsa_ieee_mode 1
		.amdhsa_fp16_overflow 0
		.amdhsa_tg_split 0
		.amdhsa_exception_fp_ieee_invalid_op 0
		.amdhsa_exception_fp_denorm_src 0
		.amdhsa_exception_fp_ieee_div_zero 0
		.amdhsa_exception_fp_ieee_overflow 0
		.amdhsa_exception_fp_ieee_underflow 0
		.amdhsa_exception_fp_ieee_inexact 0
		.amdhsa_exception_int_div_zero 0
	.end_amdhsa_kernel
	.section	.text._ZN7rocprim17ROCPRIM_400000_NS6detail17trampoline_kernelINS0_14default_configENS1_25partition_config_selectorILNS1_17partition_subalgoE5EiNS0_10empty_typeEbEEZZNS1_14partition_implILS5_5ELb0ES3_mN6thrust23THRUST_200600_302600_NS17counting_iteratorIiNSA_11use_defaultESC_SC_EEPS6_NSA_18transform_iteratorINSA_8identityIiEENSA_6detail15normal_iteratorINSA_10device_ptrIiEEEESC_SC_EENS0_5tupleIJSM_S6_EEENSO_IJSE_SE_EEES6_PlJS6_EEE10hipError_tPvRmT3_T4_T5_T6_T7_T9_mT8_P12ihipStream_tbDpT10_ENKUlT_T0_E_clISt17integral_constantIbLb0EES1B_EEDaS16_S17_EUlS16_E_NS1_11comp_targetILNS1_3genE3ELNS1_11target_archE908ELNS1_3gpuE7ELNS1_3repE0EEENS1_30default_config_static_selectorELNS0_4arch9wavefront6targetE1EEEvT1_,"axG",@progbits,_ZN7rocprim17ROCPRIM_400000_NS6detail17trampoline_kernelINS0_14default_configENS1_25partition_config_selectorILNS1_17partition_subalgoE5EiNS0_10empty_typeEbEEZZNS1_14partition_implILS5_5ELb0ES3_mN6thrust23THRUST_200600_302600_NS17counting_iteratorIiNSA_11use_defaultESC_SC_EEPS6_NSA_18transform_iteratorINSA_8identityIiEENSA_6detail15normal_iteratorINSA_10device_ptrIiEEEESC_SC_EENS0_5tupleIJSM_S6_EEENSO_IJSE_SE_EEES6_PlJS6_EEE10hipError_tPvRmT3_T4_T5_T6_T7_T9_mT8_P12ihipStream_tbDpT10_ENKUlT_T0_E_clISt17integral_constantIbLb0EES1B_EEDaS16_S17_EUlS16_E_NS1_11comp_targetILNS1_3genE3ELNS1_11target_archE908ELNS1_3gpuE7ELNS1_3repE0EEENS1_30default_config_static_selectorELNS0_4arch9wavefront6targetE1EEEvT1_,comdat
.Lfunc_end5:
	.size	_ZN7rocprim17ROCPRIM_400000_NS6detail17trampoline_kernelINS0_14default_configENS1_25partition_config_selectorILNS1_17partition_subalgoE5EiNS0_10empty_typeEbEEZZNS1_14partition_implILS5_5ELb0ES3_mN6thrust23THRUST_200600_302600_NS17counting_iteratorIiNSA_11use_defaultESC_SC_EEPS6_NSA_18transform_iteratorINSA_8identityIiEENSA_6detail15normal_iteratorINSA_10device_ptrIiEEEESC_SC_EENS0_5tupleIJSM_S6_EEENSO_IJSE_SE_EEES6_PlJS6_EEE10hipError_tPvRmT3_T4_T5_T6_T7_T9_mT8_P12ihipStream_tbDpT10_ENKUlT_T0_E_clISt17integral_constantIbLb0EES1B_EEDaS16_S17_EUlS16_E_NS1_11comp_targetILNS1_3genE3ELNS1_11target_archE908ELNS1_3gpuE7ELNS1_3repE0EEENS1_30default_config_static_selectorELNS0_4arch9wavefront6targetE1EEEvT1_, .Lfunc_end5-_ZN7rocprim17ROCPRIM_400000_NS6detail17trampoline_kernelINS0_14default_configENS1_25partition_config_selectorILNS1_17partition_subalgoE5EiNS0_10empty_typeEbEEZZNS1_14partition_implILS5_5ELb0ES3_mN6thrust23THRUST_200600_302600_NS17counting_iteratorIiNSA_11use_defaultESC_SC_EEPS6_NSA_18transform_iteratorINSA_8identityIiEENSA_6detail15normal_iteratorINSA_10device_ptrIiEEEESC_SC_EENS0_5tupleIJSM_S6_EEENSO_IJSE_SE_EEES6_PlJS6_EEE10hipError_tPvRmT3_T4_T5_T6_T7_T9_mT8_P12ihipStream_tbDpT10_ENKUlT_T0_E_clISt17integral_constantIbLb0EES1B_EEDaS16_S17_EUlS16_E_NS1_11comp_targetILNS1_3genE3ELNS1_11target_archE908ELNS1_3gpuE7ELNS1_3repE0EEENS1_30default_config_static_selectorELNS0_4arch9wavefront6targetE1EEEvT1_
                                        ; -- End function
	.section	.AMDGPU.csdata,"",@progbits
; Kernel info:
; codeLenInByte = 0
; NumSgprs: 4
; NumVgprs: 0
; NumAgprs: 0
; TotalNumVgprs: 0
; ScratchSize: 0
; MemoryBound: 0
; FloatMode: 240
; IeeeMode: 1
; LDSByteSize: 0 bytes/workgroup (compile time only)
; SGPRBlocks: 0
; VGPRBlocks: 0
; NumSGPRsForWavesPerEU: 4
; NumVGPRsForWavesPerEU: 1
; AccumOffset: 4
; Occupancy: 8
; WaveLimiterHint : 0
; COMPUTE_PGM_RSRC2:SCRATCH_EN: 0
; COMPUTE_PGM_RSRC2:USER_SGPR: 6
; COMPUTE_PGM_RSRC2:TRAP_HANDLER: 0
; COMPUTE_PGM_RSRC2:TGID_X_EN: 1
; COMPUTE_PGM_RSRC2:TGID_Y_EN: 0
; COMPUTE_PGM_RSRC2:TGID_Z_EN: 0
; COMPUTE_PGM_RSRC2:TIDIG_COMP_CNT: 0
; COMPUTE_PGM_RSRC3_GFX90A:ACCUM_OFFSET: 0
; COMPUTE_PGM_RSRC3_GFX90A:TG_SPLIT: 0
	.section	.text._ZN7rocprim17ROCPRIM_400000_NS6detail17trampoline_kernelINS0_14default_configENS1_25partition_config_selectorILNS1_17partition_subalgoE5EiNS0_10empty_typeEbEEZZNS1_14partition_implILS5_5ELb0ES3_mN6thrust23THRUST_200600_302600_NS17counting_iteratorIiNSA_11use_defaultESC_SC_EEPS6_NSA_18transform_iteratorINSA_8identityIiEENSA_6detail15normal_iteratorINSA_10device_ptrIiEEEESC_SC_EENS0_5tupleIJSM_S6_EEENSO_IJSE_SE_EEES6_PlJS6_EEE10hipError_tPvRmT3_T4_T5_T6_T7_T9_mT8_P12ihipStream_tbDpT10_ENKUlT_T0_E_clISt17integral_constantIbLb0EES1B_EEDaS16_S17_EUlS16_E_NS1_11comp_targetILNS1_3genE2ELNS1_11target_archE906ELNS1_3gpuE6ELNS1_3repE0EEENS1_30default_config_static_selectorELNS0_4arch9wavefront6targetE1EEEvT1_,"axG",@progbits,_ZN7rocprim17ROCPRIM_400000_NS6detail17trampoline_kernelINS0_14default_configENS1_25partition_config_selectorILNS1_17partition_subalgoE5EiNS0_10empty_typeEbEEZZNS1_14partition_implILS5_5ELb0ES3_mN6thrust23THRUST_200600_302600_NS17counting_iteratorIiNSA_11use_defaultESC_SC_EEPS6_NSA_18transform_iteratorINSA_8identityIiEENSA_6detail15normal_iteratorINSA_10device_ptrIiEEEESC_SC_EENS0_5tupleIJSM_S6_EEENSO_IJSE_SE_EEES6_PlJS6_EEE10hipError_tPvRmT3_T4_T5_T6_T7_T9_mT8_P12ihipStream_tbDpT10_ENKUlT_T0_E_clISt17integral_constantIbLb0EES1B_EEDaS16_S17_EUlS16_E_NS1_11comp_targetILNS1_3genE2ELNS1_11target_archE906ELNS1_3gpuE6ELNS1_3repE0EEENS1_30default_config_static_selectorELNS0_4arch9wavefront6targetE1EEEvT1_,comdat
	.protected	_ZN7rocprim17ROCPRIM_400000_NS6detail17trampoline_kernelINS0_14default_configENS1_25partition_config_selectorILNS1_17partition_subalgoE5EiNS0_10empty_typeEbEEZZNS1_14partition_implILS5_5ELb0ES3_mN6thrust23THRUST_200600_302600_NS17counting_iteratorIiNSA_11use_defaultESC_SC_EEPS6_NSA_18transform_iteratorINSA_8identityIiEENSA_6detail15normal_iteratorINSA_10device_ptrIiEEEESC_SC_EENS0_5tupleIJSM_S6_EEENSO_IJSE_SE_EEES6_PlJS6_EEE10hipError_tPvRmT3_T4_T5_T6_T7_T9_mT8_P12ihipStream_tbDpT10_ENKUlT_T0_E_clISt17integral_constantIbLb0EES1B_EEDaS16_S17_EUlS16_E_NS1_11comp_targetILNS1_3genE2ELNS1_11target_archE906ELNS1_3gpuE6ELNS1_3repE0EEENS1_30default_config_static_selectorELNS0_4arch9wavefront6targetE1EEEvT1_ ; -- Begin function _ZN7rocprim17ROCPRIM_400000_NS6detail17trampoline_kernelINS0_14default_configENS1_25partition_config_selectorILNS1_17partition_subalgoE5EiNS0_10empty_typeEbEEZZNS1_14partition_implILS5_5ELb0ES3_mN6thrust23THRUST_200600_302600_NS17counting_iteratorIiNSA_11use_defaultESC_SC_EEPS6_NSA_18transform_iteratorINSA_8identityIiEENSA_6detail15normal_iteratorINSA_10device_ptrIiEEEESC_SC_EENS0_5tupleIJSM_S6_EEENSO_IJSE_SE_EEES6_PlJS6_EEE10hipError_tPvRmT3_T4_T5_T6_T7_T9_mT8_P12ihipStream_tbDpT10_ENKUlT_T0_E_clISt17integral_constantIbLb0EES1B_EEDaS16_S17_EUlS16_E_NS1_11comp_targetILNS1_3genE2ELNS1_11target_archE906ELNS1_3gpuE6ELNS1_3repE0EEENS1_30default_config_static_selectorELNS0_4arch9wavefront6targetE1EEEvT1_
	.globl	_ZN7rocprim17ROCPRIM_400000_NS6detail17trampoline_kernelINS0_14default_configENS1_25partition_config_selectorILNS1_17partition_subalgoE5EiNS0_10empty_typeEbEEZZNS1_14partition_implILS5_5ELb0ES3_mN6thrust23THRUST_200600_302600_NS17counting_iteratorIiNSA_11use_defaultESC_SC_EEPS6_NSA_18transform_iteratorINSA_8identityIiEENSA_6detail15normal_iteratorINSA_10device_ptrIiEEEESC_SC_EENS0_5tupleIJSM_S6_EEENSO_IJSE_SE_EEES6_PlJS6_EEE10hipError_tPvRmT3_T4_T5_T6_T7_T9_mT8_P12ihipStream_tbDpT10_ENKUlT_T0_E_clISt17integral_constantIbLb0EES1B_EEDaS16_S17_EUlS16_E_NS1_11comp_targetILNS1_3genE2ELNS1_11target_archE906ELNS1_3gpuE6ELNS1_3repE0EEENS1_30default_config_static_selectorELNS0_4arch9wavefront6targetE1EEEvT1_
	.p2align	8
	.type	_ZN7rocprim17ROCPRIM_400000_NS6detail17trampoline_kernelINS0_14default_configENS1_25partition_config_selectorILNS1_17partition_subalgoE5EiNS0_10empty_typeEbEEZZNS1_14partition_implILS5_5ELb0ES3_mN6thrust23THRUST_200600_302600_NS17counting_iteratorIiNSA_11use_defaultESC_SC_EEPS6_NSA_18transform_iteratorINSA_8identityIiEENSA_6detail15normal_iteratorINSA_10device_ptrIiEEEESC_SC_EENS0_5tupleIJSM_S6_EEENSO_IJSE_SE_EEES6_PlJS6_EEE10hipError_tPvRmT3_T4_T5_T6_T7_T9_mT8_P12ihipStream_tbDpT10_ENKUlT_T0_E_clISt17integral_constantIbLb0EES1B_EEDaS16_S17_EUlS16_E_NS1_11comp_targetILNS1_3genE2ELNS1_11target_archE906ELNS1_3gpuE6ELNS1_3repE0EEENS1_30default_config_static_selectorELNS0_4arch9wavefront6targetE1EEEvT1_,@function
_ZN7rocprim17ROCPRIM_400000_NS6detail17trampoline_kernelINS0_14default_configENS1_25partition_config_selectorILNS1_17partition_subalgoE5EiNS0_10empty_typeEbEEZZNS1_14partition_implILS5_5ELb0ES3_mN6thrust23THRUST_200600_302600_NS17counting_iteratorIiNSA_11use_defaultESC_SC_EEPS6_NSA_18transform_iteratorINSA_8identityIiEENSA_6detail15normal_iteratorINSA_10device_ptrIiEEEESC_SC_EENS0_5tupleIJSM_S6_EEENSO_IJSE_SE_EEES6_PlJS6_EEE10hipError_tPvRmT3_T4_T5_T6_T7_T9_mT8_P12ihipStream_tbDpT10_ENKUlT_T0_E_clISt17integral_constantIbLb0EES1B_EEDaS16_S17_EUlS16_E_NS1_11comp_targetILNS1_3genE2ELNS1_11target_archE906ELNS1_3gpuE6ELNS1_3repE0EEENS1_30default_config_static_selectorELNS0_4arch9wavefront6targetE1EEEvT1_: ; @_ZN7rocprim17ROCPRIM_400000_NS6detail17trampoline_kernelINS0_14default_configENS1_25partition_config_selectorILNS1_17partition_subalgoE5EiNS0_10empty_typeEbEEZZNS1_14partition_implILS5_5ELb0ES3_mN6thrust23THRUST_200600_302600_NS17counting_iteratorIiNSA_11use_defaultESC_SC_EEPS6_NSA_18transform_iteratorINSA_8identityIiEENSA_6detail15normal_iteratorINSA_10device_ptrIiEEEESC_SC_EENS0_5tupleIJSM_S6_EEENSO_IJSE_SE_EEES6_PlJS6_EEE10hipError_tPvRmT3_T4_T5_T6_T7_T9_mT8_P12ihipStream_tbDpT10_ENKUlT_T0_E_clISt17integral_constantIbLb0EES1B_EEDaS16_S17_EUlS16_E_NS1_11comp_targetILNS1_3genE2ELNS1_11target_archE906ELNS1_3gpuE6ELNS1_3repE0EEENS1_30default_config_static_selectorELNS0_4arch9wavefront6targetE1EEEvT1_
; %bb.0:
	.section	.rodata,"a",@progbits
	.p2align	6, 0x0
	.amdhsa_kernel _ZN7rocprim17ROCPRIM_400000_NS6detail17trampoline_kernelINS0_14default_configENS1_25partition_config_selectorILNS1_17partition_subalgoE5EiNS0_10empty_typeEbEEZZNS1_14partition_implILS5_5ELb0ES3_mN6thrust23THRUST_200600_302600_NS17counting_iteratorIiNSA_11use_defaultESC_SC_EEPS6_NSA_18transform_iteratorINSA_8identityIiEENSA_6detail15normal_iteratorINSA_10device_ptrIiEEEESC_SC_EENS0_5tupleIJSM_S6_EEENSO_IJSE_SE_EEES6_PlJS6_EEE10hipError_tPvRmT3_T4_T5_T6_T7_T9_mT8_P12ihipStream_tbDpT10_ENKUlT_T0_E_clISt17integral_constantIbLb0EES1B_EEDaS16_S17_EUlS16_E_NS1_11comp_targetILNS1_3genE2ELNS1_11target_archE906ELNS1_3gpuE6ELNS1_3repE0EEENS1_30default_config_static_selectorELNS0_4arch9wavefront6targetE1EEEvT1_
		.amdhsa_group_segment_fixed_size 0
		.amdhsa_private_segment_fixed_size 0
		.amdhsa_kernarg_size 120
		.amdhsa_user_sgpr_count 6
		.amdhsa_user_sgpr_private_segment_buffer 1
		.amdhsa_user_sgpr_dispatch_ptr 0
		.amdhsa_user_sgpr_queue_ptr 0
		.amdhsa_user_sgpr_kernarg_segment_ptr 1
		.amdhsa_user_sgpr_dispatch_id 0
		.amdhsa_user_sgpr_flat_scratch_init 0
		.amdhsa_user_sgpr_kernarg_preload_length 0
		.amdhsa_user_sgpr_kernarg_preload_offset 0
		.amdhsa_user_sgpr_private_segment_size 0
		.amdhsa_uses_dynamic_stack 0
		.amdhsa_system_sgpr_private_segment_wavefront_offset 0
		.amdhsa_system_sgpr_workgroup_id_x 1
		.amdhsa_system_sgpr_workgroup_id_y 0
		.amdhsa_system_sgpr_workgroup_id_z 0
		.amdhsa_system_sgpr_workgroup_info 0
		.amdhsa_system_vgpr_workitem_id 0
		.amdhsa_next_free_vgpr 1
		.amdhsa_next_free_sgpr 0
		.amdhsa_accum_offset 4
		.amdhsa_reserve_vcc 0
		.amdhsa_reserve_flat_scratch 0
		.amdhsa_float_round_mode_32 0
		.amdhsa_float_round_mode_16_64 0
		.amdhsa_float_denorm_mode_32 3
		.amdhsa_float_denorm_mode_16_64 3
		.amdhsa_dx10_clamp 1
		.amdhsa_ieee_mode 1
		.amdhsa_fp16_overflow 0
		.amdhsa_tg_split 0
		.amdhsa_exception_fp_ieee_invalid_op 0
		.amdhsa_exception_fp_denorm_src 0
		.amdhsa_exception_fp_ieee_div_zero 0
		.amdhsa_exception_fp_ieee_overflow 0
		.amdhsa_exception_fp_ieee_underflow 0
		.amdhsa_exception_fp_ieee_inexact 0
		.amdhsa_exception_int_div_zero 0
	.end_amdhsa_kernel
	.section	.text._ZN7rocprim17ROCPRIM_400000_NS6detail17trampoline_kernelINS0_14default_configENS1_25partition_config_selectorILNS1_17partition_subalgoE5EiNS0_10empty_typeEbEEZZNS1_14partition_implILS5_5ELb0ES3_mN6thrust23THRUST_200600_302600_NS17counting_iteratorIiNSA_11use_defaultESC_SC_EEPS6_NSA_18transform_iteratorINSA_8identityIiEENSA_6detail15normal_iteratorINSA_10device_ptrIiEEEESC_SC_EENS0_5tupleIJSM_S6_EEENSO_IJSE_SE_EEES6_PlJS6_EEE10hipError_tPvRmT3_T4_T5_T6_T7_T9_mT8_P12ihipStream_tbDpT10_ENKUlT_T0_E_clISt17integral_constantIbLb0EES1B_EEDaS16_S17_EUlS16_E_NS1_11comp_targetILNS1_3genE2ELNS1_11target_archE906ELNS1_3gpuE6ELNS1_3repE0EEENS1_30default_config_static_selectorELNS0_4arch9wavefront6targetE1EEEvT1_,"axG",@progbits,_ZN7rocprim17ROCPRIM_400000_NS6detail17trampoline_kernelINS0_14default_configENS1_25partition_config_selectorILNS1_17partition_subalgoE5EiNS0_10empty_typeEbEEZZNS1_14partition_implILS5_5ELb0ES3_mN6thrust23THRUST_200600_302600_NS17counting_iteratorIiNSA_11use_defaultESC_SC_EEPS6_NSA_18transform_iteratorINSA_8identityIiEENSA_6detail15normal_iteratorINSA_10device_ptrIiEEEESC_SC_EENS0_5tupleIJSM_S6_EEENSO_IJSE_SE_EEES6_PlJS6_EEE10hipError_tPvRmT3_T4_T5_T6_T7_T9_mT8_P12ihipStream_tbDpT10_ENKUlT_T0_E_clISt17integral_constantIbLb0EES1B_EEDaS16_S17_EUlS16_E_NS1_11comp_targetILNS1_3genE2ELNS1_11target_archE906ELNS1_3gpuE6ELNS1_3repE0EEENS1_30default_config_static_selectorELNS0_4arch9wavefront6targetE1EEEvT1_,comdat
.Lfunc_end6:
	.size	_ZN7rocprim17ROCPRIM_400000_NS6detail17trampoline_kernelINS0_14default_configENS1_25partition_config_selectorILNS1_17partition_subalgoE5EiNS0_10empty_typeEbEEZZNS1_14partition_implILS5_5ELb0ES3_mN6thrust23THRUST_200600_302600_NS17counting_iteratorIiNSA_11use_defaultESC_SC_EEPS6_NSA_18transform_iteratorINSA_8identityIiEENSA_6detail15normal_iteratorINSA_10device_ptrIiEEEESC_SC_EENS0_5tupleIJSM_S6_EEENSO_IJSE_SE_EEES6_PlJS6_EEE10hipError_tPvRmT3_T4_T5_T6_T7_T9_mT8_P12ihipStream_tbDpT10_ENKUlT_T0_E_clISt17integral_constantIbLb0EES1B_EEDaS16_S17_EUlS16_E_NS1_11comp_targetILNS1_3genE2ELNS1_11target_archE906ELNS1_3gpuE6ELNS1_3repE0EEENS1_30default_config_static_selectorELNS0_4arch9wavefront6targetE1EEEvT1_, .Lfunc_end6-_ZN7rocprim17ROCPRIM_400000_NS6detail17trampoline_kernelINS0_14default_configENS1_25partition_config_selectorILNS1_17partition_subalgoE5EiNS0_10empty_typeEbEEZZNS1_14partition_implILS5_5ELb0ES3_mN6thrust23THRUST_200600_302600_NS17counting_iteratorIiNSA_11use_defaultESC_SC_EEPS6_NSA_18transform_iteratorINSA_8identityIiEENSA_6detail15normal_iteratorINSA_10device_ptrIiEEEESC_SC_EENS0_5tupleIJSM_S6_EEENSO_IJSE_SE_EEES6_PlJS6_EEE10hipError_tPvRmT3_T4_T5_T6_T7_T9_mT8_P12ihipStream_tbDpT10_ENKUlT_T0_E_clISt17integral_constantIbLb0EES1B_EEDaS16_S17_EUlS16_E_NS1_11comp_targetILNS1_3genE2ELNS1_11target_archE906ELNS1_3gpuE6ELNS1_3repE0EEENS1_30default_config_static_selectorELNS0_4arch9wavefront6targetE1EEEvT1_
                                        ; -- End function
	.section	.AMDGPU.csdata,"",@progbits
; Kernel info:
; codeLenInByte = 0
; NumSgprs: 4
; NumVgprs: 0
; NumAgprs: 0
; TotalNumVgprs: 0
; ScratchSize: 0
; MemoryBound: 0
; FloatMode: 240
; IeeeMode: 1
; LDSByteSize: 0 bytes/workgroup (compile time only)
; SGPRBlocks: 0
; VGPRBlocks: 0
; NumSGPRsForWavesPerEU: 4
; NumVGPRsForWavesPerEU: 1
; AccumOffset: 4
; Occupancy: 8
; WaveLimiterHint : 0
; COMPUTE_PGM_RSRC2:SCRATCH_EN: 0
; COMPUTE_PGM_RSRC2:USER_SGPR: 6
; COMPUTE_PGM_RSRC2:TRAP_HANDLER: 0
; COMPUTE_PGM_RSRC2:TGID_X_EN: 1
; COMPUTE_PGM_RSRC2:TGID_Y_EN: 0
; COMPUTE_PGM_RSRC2:TGID_Z_EN: 0
; COMPUTE_PGM_RSRC2:TIDIG_COMP_CNT: 0
; COMPUTE_PGM_RSRC3_GFX90A:ACCUM_OFFSET: 0
; COMPUTE_PGM_RSRC3_GFX90A:TG_SPLIT: 0
	.section	.text._ZN7rocprim17ROCPRIM_400000_NS6detail17trampoline_kernelINS0_14default_configENS1_25partition_config_selectorILNS1_17partition_subalgoE5EiNS0_10empty_typeEbEEZZNS1_14partition_implILS5_5ELb0ES3_mN6thrust23THRUST_200600_302600_NS17counting_iteratorIiNSA_11use_defaultESC_SC_EEPS6_NSA_18transform_iteratorINSA_8identityIiEENSA_6detail15normal_iteratorINSA_10device_ptrIiEEEESC_SC_EENS0_5tupleIJSM_S6_EEENSO_IJSE_SE_EEES6_PlJS6_EEE10hipError_tPvRmT3_T4_T5_T6_T7_T9_mT8_P12ihipStream_tbDpT10_ENKUlT_T0_E_clISt17integral_constantIbLb0EES1B_EEDaS16_S17_EUlS16_E_NS1_11comp_targetILNS1_3genE10ELNS1_11target_archE1200ELNS1_3gpuE4ELNS1_3repE0EEENS1_30default_config_static_selectorELNS0_4arch9wavefront6targetE1EEEvT1_,"axG",@progbits,_ZN7rocprim17ROCPRIM_400000_NS6detail17trampoline_kernelINS0_14default_configENS1_25partition_config_selectorILNS1_17partition_subalgoE5EiNS0_10empty_typeEbEEZZNS1_14partition_implILS5_5ELb0ES3_mN6thrust23THRUST_200600_302600_NS17counting_iteratorIiNSA_11use_defaultESC_SC_EEPS6_NSA_18transform_iteratorINSA_8identityIiEENSA_6detail15normal_iteratorINSA_10device_ptrIiEEEESC_SC_EENS0_5tupleIJSM_S6_EEENSO_IJSE_SE_EEES6_PlJS6_EEE10hipError_tPvRmT3_T4_T5_T6_T7_T9_mT8_P12ihipStream_tbDpT10_ENKUlT_T0_E_clISt17integral_constantIbLb0EES1B_EEDaS16_S17_EUlS16_E_NS1_11comp_targetILNS1_3genE10ELNS1_11target_archE1200ELNS1_3gpuE4ELNS1_3repE0EEENS1_30default_config_static_selectorELNS0_4arch9wavefront6targetE1EEEvT1_,comdat
	.protected	_ZN7rocprim17ROCPRIM_400000_NS6detail17trampoline_kernelINS0_14default_configENS1_25partition_config_selectorILNS1_17partition_subalgoE5EiNS0_10empty_typeEbEEZZNS1_14partition_implILS5_5ELb0ES3_mN6thrust23THRUST_200600_302600_NS17counting_iteratorIiNSA_11use_defaultESC_SC_EEPS6_NSA_18transform_iteratorINSA_8identityIiEENSA_6detail15normal_iteratorINSA_10device_ptrIiEEEESC_SC_EENS0_5tupleIJSM_S6_EEENSO_IJSE_SE_EEES6_PlJS6_EEE10hipError_tPvRmT3_T4_T5_T6_T7_T9_mT8_P12ihipStream_tbDpT10_ENKUlT_T0_E_clISt17integral_constantIbLb0EES1B_EEDaS16_S17_EUlS16_E_NS1_11comp_targetILNS1_3genE10ELNS1_11target_archE1200ELNS1_3gpuE4ELNS1_3repE0EEENS1_30default_config_static_selectorELNS0_4arch9wavefront6targetE1EEEvT1_ ; -- Begin function _ZN7rocprim17ROCPRIM_400000_NS6detail17trampoline_kernelINS0_14default_configENS1_25partition_config_selectorILNS1_17partition_subalgoE5EiNS0_10empty_typeEbEEZZNS1_14partition_implILS5_5ELb0ES3_mN6thrust23THRUST_200600_302600_NS17counting_iteratorIiNSA_11use_defaultESC_SC_EEPS6_NSA_18transform_iteratorINSA_8identityIiEENSA_6detail15normal_iteratorINSA_10device_ptrIiEEEESC_SC_EENS0_5tupleIJSM_S6_EEENSO_IJSE_SE_EEES6_PlJS6_EEE10hipError_tPvRmT3_T4_T5_T6_T7_T9_mT8_P12ihipStream_tbDpT10_ENKUlT_T0_E_clISt17integral_constantIbLb0EES1B_EEDaS16_S17_EUlS16_E_NS1_11comp_targetILNS1_3genE10ELNS1_11target_archE1200ELNS1_3gpuE4ELNS1_3repE0EEENS1_30default_config_static_selectorELNS0_4arch9wavefront6targetE1EEEvT1_
	.globl	_ZN7rocprim17ROCPRIM_400000_NS6detail17trampoline_kernelINS0_14default_configENS1_25partition_config_selectorILNS1_17partition_subalgoE5EiNS0_10empty_typeEbEEZZNS1_14partition_implILS5_5ELb0ES3_mN6thrust23THRUST_200600_302600_NS17counting_iteratorIiNSA_11use_defaultESC_SC_EEPS6_NSA_18transform_iteratorINSA_8identityIiEENSA_6detail15normal_iteratorINSA_10device_ptrIiEEEESC_SC_EENS0_5tupleIJSM_S6_EEENSO_IJSE_SE_EEES6_PlJS6_EEE10hipError_tPvRmT3_T4_T5_T6_T7_T9_mT8_P12ihipStream_tbDpT10_ENKUlT_T0_E_clISt17integral_constantIbLb0EES1B_EEDaS16_S17_EUlS16_E_NS1_11comp_targetILNS1_3genE10ELNS1_11target_archE1200ELNS1_3gpuE4ELNS1_3repE0EEENS1_30default_config_static_selectorELNS0_4arch9wavefront6targetE1EEEvT1_
	.p2align	8
	.type	_ZN7rocprim17ROCPRIM_400000_NS6detail17trampoline_kernelINS0_14default_configENS1_25partition_config_selectorILNS1_17partition_subalgoE5EiNS0_10empty_typeEbEEZZNS1_14partition_implILS5_5ELb0ES3_mN6thrust23THRUST_200600_302600_NS17counting_iteratorIiNSA_11use_defaultESC_SC_EEPS6_NSA_18transform_iteratorINSA_8identityIiEENSA_6detail15normal_iteratorINSA_10device_ptrIiEEEESC_SC_EENS0_5tupleIJSM_S6_EEENSO_IJSE_SE_EEES6_PlJS6_EEE10hipError_tPvRmT3_T4_T5_T6_T7_T9_mT8_P12ihipStream_tbDpT10_ENKUlT_T0_E_clISt17integral_constantIbLb0EES1B_EEDaS16_S17_EUlS16_E_NS1_11comp_targetILNS1_3genE10ELNS1_11target_archE1200ELNS1_3gpuE4ELNS1_3repE0EEENS1_30default_config_static_selectorELNS0_4arch9wavefront6targetE1EEEvT1_,@function
_ZN7rocprim17ROCPRIM_400000_NS6detail17trampoline_kernelINS0_14default_configENS1_25partition_config_selectorILNS1_17partition_subalgoE5EiNS0_10empty_typeEbEEZZNS1_14partition_implILS5_5ELb0ES3_mN6thrust23THRUST_200600_302600_NS17counting_iteratorIiNSA_11use_defaultESC_SC_EEPS6_NSA_18transform_iteratorINSA_8identityIiEENSA_6detail15normal_iteratorINSA_10device_ptrIiEEEESC_SC_EENS0_5tupleIJSM_S6_EEENSO_IJSE_SE_EEES6_PlJS6_EEE10hipError_tPvRmT3_T4_T5_T6_T7_T9_mT8_P12ihipStream_tbDpT10_ENKUlT_T0_E_clISt17integral_constantIbLb0EES1B_EEDaS16_S17_EUlS16_E_NS1_11comp_targetILNS1_3genE10ELNS1_11target_archE1200ELNS1_3gpuE4ELNS1_3repE0EEENS1_30default_config_static_selectorELNS0_4arch9wavefront6targetE1EEEvT1_: ; @_ZN7rocprim17ROCPRIM_400000_NS6detail17trampoline_kernelINS0_14default_configENS1_25partition_config_selectorILNS1_17partition_subalgoE5EiNS0_10empty_typeEbEEZZNS1_14partition_implILS5_5ELb0ES3_mN6thrust23THRUST_200600_302600_NS17counting_iteratorIiNSA_11use_defaultESC_SC_EEPS6_NSA_18transform_iteratorINSA_8identityIiEENSA_6detail15normal_iteratorINSA_10device_ptrIiEEEESC_SC_EENS0_5tupleIJSM_S6_EEENSO_IJSE_SE_EEES6_PlJS6_EEE10hipError_tPvRmT3_T4_T5_T6_T7_T9_mT8_P12ihipStream_tbDpT10_ENKUlT_T0_E_clISt17integral_constantIbLb0EES1B_EEDaS16_S17_EUlS16_E_NS1_11comp_targetILNS1_3genE10ELNS1_11target_archE1200ELNS1_3gpuE4ELNS1_3repE0EEENS1_30default_config_static_selectorELNS0_4arch9wavefront6targetE1EEEvT1_
; %bb.0:
	.section	.rodata,"a",@progbits
	.p2align	6, 0x0
	.amdhsa_kernel _ZN7rocprim17ROCPRIM_400000_NS6detail17trampoline_kernelINS0_14default_configENS1_25partition_config_selectorILNS1_17partition_subalgoE5EiNS0_10empty_typeEbEEZZNS1_14partition_implILS5_5ELb0ES3_mN6thrust23THRUST_200600_302600_NS17counting_iteratorIiNSA_11use_defaultESC_SC_EEPS6_NSA_18transform_iteratorINSA_8identityIiEENSA_6detail15normal_iteratorINSA_10device_ptrIiEEEESC_SC_EENS0_5tupleIJSM_S6_EEENSO_IJSE_SE_EEES6_PlJS6_EEE10hipError_tPvRmT3_T4_T5_T6_T7_T9_mT8_P12ihipStream_tbDpT10_ENKUlT_T0_E_clISt17integral_constantIbLb0EES1B_EEDaS16_S17_EUlS16_E_NS1_11comp_targetILNS1_3genE10ELNS1_11target_archE1200ELNS1_3gpuE4ELNS1_3repE0EEENS1_30default_config_static_selectorELNS0_4arch9wavefront6targetE1EEEvT1_
		.amdhsa_group_segment_fixed_size 0
		.amdhsa_private_segment_fixed_size 0
		.amdhsa_kernarg_size 120
		.amdhsa_user_sgpr_count 6
		.amdhsa_user_sgpr_private_segment_buffer 1
		.amdhsa_user_sgpr_dispatch_ptr 0
		.amdhsa_user_sgpr_queue_ptr 0
		.amdhsa_user_sgpr_kernarg_segment_ptr 1
		.amdhsa_user_sgpr_dispatch_id 0
		.amdhsa_user_sgpr_flat_scratch_init 0
		.amdhsa_user_sgpr_kernarg_preload_length 0
		.amdhsa_user_sgpr_kernarg_preload_offset 0
		.amdhsa_user_sgpr_private_segment_size 0
		.amdhsa_uses_dynamic_stack 0
		.amdhsa_system_sgpr_private_segment_wavefront_offset 0
		.amdhsa_system_sgpr_workgroup_id_x 1
		.amdhsa_system_sgpr_workgroup_id_y 0
		.amdhsa_system_sgpr_workgroup_id_z 0
		.amdhsa_system_sgpr_workgroup_info 0
		.amdhsa_system_vgpr_workitem_id 0
		.amdhsa_next_free_vgpr 1
		.amdhsa_next_free_sgpr 0
		.amdhsa_accum_offset 4
		.amdhsa_reserve_vcc 0
		.amdhsa_reserve_flat_scratch 0
		.amdhsa_float_round_mode_32 0
		.amdhsa_float_round_mode_16_64 0
		.amdhsa_float_denorm_mode_32 3
		.amdhsa_float_denorm_mode_16_64 3
		.amdhsa_dx10_clamp 1
		.amdhsa_ieee_mode 1
		.amdhsa_fp16_overflow 0
		.amdhsa_tg_split 0
		.amdhsa_exception_fp_ieee_invalid_op 0
		.amdhsa_exception_fp_denorm_src 0
		.amdhsa_exception_fp_ieee_div_zero 0
		.amdhsa_exception_fp_ieee_overflow 0
		.amdhsa_exception_fp_ieee_underflow 0
		.amdhsa_exception_fp_ieee_inexact 0
		.amdhsa_exception_int_div_zero 0
	.end_amdhsa_kernel
	.section	.text._ZN7rocprim17ROCPRIM_400000_NS6detail17trampoline_kernelINS0_14default_configENS1_25partition_config_selectorILNS1_17partition_subalgoE5EiNS0_10empty_typeEbEEZZNS1_14partition_implILS5_5ELb0ES3_mN6thrust23THRUST_200600_302600_NS17counting_iteratorIiNSA_11use_defaultESC_SC_EEPS6_NSA_18transform_iteratorINSA_8identityIiEENSA_6detail15normal_iteratorINSA_10device_ptrIiEEEESC_SC_EENS0_5tupleIJSM_S6_EEENSO_IJSE_SE_EEES6_PlJS6_EEE10hipError_tPvRmT3_T4_T5_T6_T7_T9_mT8_P12ihipStream_tbDpT10_ENKUlT_T0_E_clISt17integral_constantIbLb0EES1B_EEDaS16_S17_EUlS16_E_NS1_11comp_targetILNS1_3genE10ELNS1_11target_archE1200ELNS1_3gpuE4ELNS1_3repE0EEENS1_30default_config_static_selectorELNS0_4arch9wavefront6targetE1EEEvT1_,"axG",@progbits,_ZN7rocprim17ROCPRIM_400000_NS6detail17trampoline_kernelINS0_14default_configENS1_25partition_config_selectorILNS1_17partition_subalgoE5EiNS0_10empty_typeEbEEZZNS1_14partition_implILS5_5ELb0ES3_mN6thrust23THRUST_200600_302600_NS17counting_iteratorIiNSA_11use_defaultESC_SC_EEPS6_NSA_18transform_iteratorINSA_8identityIiEENSA_6detail15normal_iteratorINSA_10device_ptrIiEEEESC_SC_EENS0_5tupleIJSM_S6_EEENSO_IJSE_SE_EEES6_PlJS6_EEE10hipError_tPvRmT3_T4_T5_T6_T7_T9_mT8_P12ihipStream_tbDpT10_ENKUlT_T0_E_clISt17integral_constantIbLb0EES1B_EEDaS16_S17_EUlS16_E_NS1_11comp_targetILNS1_3genE10ELNS1_11target_archE1200ELNS1_3gpuE4ELNS1_3repE0EEENS1_30default_config_static_selectorELNS0_4arch9wavefront6targetE1EEEvT1_,comdat
.Lfunc_end7:
	.size	_ZN7rocprim17ROCPRIM_400000_NS6detail17trampoline_kernelINS0_14default_configENS1_25partition_config_selectorILNS1_17partition_subalgoE5EiNS0_10empty_typeEbEEZZNS1_14partition_implILS5_5ELb0ES3_mN6thrust23THRUST_200600_302600_NS17counting_iteratorIiNSA_11use_defaultESC_SC_EEPS6_NSA_18transform_iteratorINSA_8identityIiEENSA_6detail15normal_iteratorINSA_10device_ptrIiEEEESC_SC_EENS0_5tupleIJSM_S6_EEENSO_IJSE_SE_EEES6_PlJS6_EEE10hipError_tPvRmT3_T4_T5_T6_T7_T9_mT8_P12ihipStream_tbDpT10_ENKUlT_T0_E_clISt17integral_constantIbLb0EES1B_EEDaS16_S17_EUlS16_E_NS1_11comp_targetILNS1_3genE10ELNS1_11target_archE1200ELNS1_3gpuE4ELNS1_3repE0EEENS1_30default_config_static_selectorELNS0_4arch9wavefront6targetE1EEEvT1_, .Lfunc_end7-_ZN7rocprim17ROCPRIM_400000_NS6detail17trampoline_kernelINS0_14default_configENS1_25partition_config_selectorILNS1_17partition_subalgoE5EiNS0_10empty_typeEbEEZZNS1_14partition_implILS5_5ELb0ES3_mN6thrust23THRUST_200600_302600_NS17counting_iteratorIiNSA_11use_defaultESC_SC_EEPS6_NSA_18transform_iteratorINSA_8identityIiEENSA_6detail15normal_iteratorINSA_10device_ptrIiEEEESC_SC_EENS0_5tupleIJSM_S6_EEENSO_IJSE_SE_EEES6_PlJS6_EEE10hipError_tPvRmT3_T4_T5_T6_T7_T9_mT8_P12ihipStream_tbDpT10_ENKUlT_T0_E_clISt17integral_constantIbLb0EES1B_EEDaS16_S17_EUlS16_E_NS1_11comp_targetILNS1_3genE10ELNS1_11target_archE1200ELNS1_3gpuE4ELNS1_3repE0EEENS1_30default_config_static_selectorELNS0_4arch9wavefront6targetE1EEEvT1_
                                        ; -- End function
	.section	.AMDGPU.csdata,"",@progbits
; Kernel info:
; codeLenInByte = 0
; NumSgprs: 4
; NumVgprs: 0
; NumAgprs: 0
; TotalNumVgprs: 0
; ScratchSize: 0
; MemoryBound: 0
; FloatMode: 240
; IeeeMode: 1
; LDSByteSize: 0 bytes/workgroup (compile time only)
; SGPRBlocks: 0
; VGPRBlocks: 0
; NumSGPRsForWavesPerEU: 4
; NumVGPRsForWavesPerEU: 1
; AccumOffset: 4
; Occupancy: 8
; WaveLimiterHint : 0
; COMPUTE_PGM_RSRC2:SCRATCH_EN: 0
; COMPUTE_PGM_RSRC2:USER_SGPR: 6
; COMPUTE_PGM_RSRC2:TRAP_HANDLER: 0
; COMPUTE_PGM_RSRC2:TGID_X_EN: 1
; COMPUTE_PGM_RSRC2:TGID_Y_EN: 0
; COMPUTE_PGM_RSRC2:TGID_Z_EN: 0
; COMPUTE_PGM_RSRC2:TIDIG_COMP_CNT: 0
; COMPUTE_PGM_RSRC3_GFX90A:ACCUM_OFFSET: 0
; COMPUTE_PGM_RSRC3_GFX90A:TG_SPLIT: 0
	.section	.text._ZN7rocprim17ROCPRIM_400000_NS6detail17trampoline_kernelINS0_14default_configENS1_25partition_config_selectorILNS1_17partition_subalgoE5EiNS0_10empty_typeEbEEZZNS1_14partition_implILS5_5ELb0ES3_mN6thrust23THRUST_200600_302600_NS17counting_iteratorIiNSA_11use_defaultESC_SC_EEPS6_NSA_18transform_iteratorINSA_8identityIiEENSA_6detail15normal_iteratorINSA_10device_ptrIiEEEESC_SC_EENS0_5tupleIJSM_S6_EEENSO_IJSE_SE_EEES6_PlJS6_EEE10hipError_tPvRmT3_T4_T5_T6_T7_T9_mT8_P12ihipStream_tbDpT10_ENKUlT_T0_E_clISt17integral_constantIbLb0EES1B_EEDaS16_S17_EUlS16_E_NS1_11comp_targetILNS1_3genE9ELNS1_11target_archE1100ELNS1_3gpuE3ELNS1_3repE0EEENS1_30default_config_static_selectorELNS0_4arch9wavefront6targetE1EEEvT1_,"axG",@progbits,_ZN7rocprim17ROCPRIM_400000_NS6detail17trampoline_kernelINS0_14default_configENS1_25partition_config_selectorILNS1_17partition_subalgoE5EiNS0_10empty_typeEbEEZZNS1_14partition_implILS5_5ELb0ES3_mN6thrust23THRUST_200600_302600_NS17counting_iteratorIiNSA_11use_defaultESC_SC_EEPS6_NSA_18transform_iteratorINSA_8identityIiEENSA_6detail15normal_iteratorINSA_10device_ptrIiEEEESC_SC_EENS0_5tupleIJSM_S6_EEENSO_IJSE_SE_EEES6_PlJS6_EEE10hipError_tPvRmT3_T4_T5_T6_T7_T9_mT8_P12ihipStream_tbDpT10_ENKUlT_T0_E_clISt17integral_constantIbLb0EES1B_EEDaS16_S17_EUlS16_E_NS1_11comp_targetILNS1_3genE9ELNS1_11target_archE1100ELNS1_3gpuE3ELNS1_3repE0EEENS1_30default_config_static_selectorELNS0_4arch9wavefront6targetE1EEEvT1_,comdat
	.protected	_ZN7rocprim17ROCPRIM_400000_NS6detail17trampoline_kernelINS0_14default_configENS1_25partition_config_selectorILNS1_17partition_subalgoE5EiNS0_10empty_typeEbEEZZNS1_14partition_implILS5_5ELb0ES3_mN6thrust23THRUST_200600_302600_NS17counting_iteratorIiNSA_11use_defaultESC_SC_EEPS6_NSA_18transform_iteratorINSA_8identityIiEENSA_6detail15normal_iteratorINSA_10device_ptrIiEEEESC_SC_EENS0_5tupleIJSM_S6_EEENSO_IJSE_SE_EEES6_PlJS6_EEE10hipError_tPvRmT3_T4_T5_T6_T7_T9_mT8_P12ihipStream_tbDpT10_ENKUlT_T0_E_clISt17integral_constantIbLb0EES1B_EEDaS16_S17_EUlS16_E_NS1_11comp_targetILNS1_3genE9ELNS1_11target_archE1100ELNS1_3gpuE3ELNS1_3repE0EEENS1_30default_config_static_selectorELNS0_4arch9wavefront6targetE1EEEvT1_ ; -- Begin function _ZN7rocprim17ROCPRIM_400000_NS6detail17trampoline_kernelINS0_14default_configENS1_25partition_config_selectorILNS1_17partition_subalgoE5EiNS0_10empty_typeEbEEZZNS1_14partition_implILS5_5ELb0ES3_mN6thrust23THRUST_200600_302600_NS17counting_iteratorIiNSA_11use_defaultESC_SC_EEPS6_NSA_18transform_iteratorINSA_8identityIiEENSA_6detail15normal_iteratorINSA_10device_ptrIiEEEESC_SC_EENS0_5tupleIJSM_S6_EEENSO_IJSE_SE_EEES6_PlJS6_EEE10hipError_tPvRmT3_T4_T5_T6_T7_T9_mT8_P12ihipStream_tbDpT10_ENKUlT_T0_E_clISt17integral_constantIbLb0EES1B_EEDaS16_S17_EUlS16_E_NS1_11comp_targetILNS1_3genE9ELNS1_11target_archE1100ELNS1_3gpuE3ELNS1_3repE0EEENS1_30default_config_static_selectorELNS0_4arch9wavefront6targetE1EEEvT1_
	.globl	_ZN7rocprim17ROCPRIM_400000_NS6detail17trampoline_kernelINS0_14default_configENS1_25partition_config_selectorILNS1_17partition_subalgoE5EiNS0_10empty_typeEbEEZZNS1_14partition_implILS5_5ELb0ES3_mN6thrust23THRUST_200600_302600_NS17counting_iteratorIiNSA_11use_defaultESC_SC_EEPS6_NSA_18transform_iteratorINSA_8identityIiEENSA_6detail15normal_iteratorINSA_10device_ptrIiEEEESC_SC_EENS0_5tupleIJSM_S6_EEENSO_IJSE_SE_EEES6_PlJS6_EEE10hipError_tPvRmT3_T4_T5_T6_T7_T9_mT8_P12ihipStream_tbDpT10_ENKUlT_T0_E_clISt17integral_constantIbLb0EES1B_EEDaS16_S17_EUlS16_E_NS1_11comp_targetILNS1_3genE9ELNS1_11target_archE1100ELNS1_3gpuE3ELNS1_3repE0EEENS1_30default_config_static_selectorELNS0_4arch9wavefront6targetE1EEEvT1_
	.p2align	8
	.type	_ZN7rocprim17ROCPRIM_400000_NS6detail17trampoline_kernelINS0_14default_configENS1_25partition_config_selectorILNS1_17partition_subalgoE5EiNS0_10empty_typeEbEEZZNS1_14partition_implILS5_5ELb0ES3_mN6thrust23THRUST_200600_302600_NS17counting_iteratorIiNSA_11use_defaultESC_SC_EEPS6_NSA_18transform_iteratorINSA_8identityIiEENSA_6detail15normal_iteratorINSA_10device_ptrIiEEEESC_SC_EENS0_5tupleIJSM_S6_EEENSO_IJSE_SE_EEES6_PlJS6_EEE10hipError_tPvRmT3_T4_T5_T6_T7_T9_mT8_P12ihipStream_tbDpT10_ENKUlT_T0_E_clISt17integral_constantIbLb0EES1B_EEDaS16_S17_EUlS16_E_NS1_11comp_targetILNS1_3genE9ELNS1_11target_archE1100ELNS1_3gpuE3ELNS1_3repE0EEENS1_30default_config_static_selectorELNS0_4arch9wavefront6targetE1EEEvT1_,@function
_ZN7rocprim17ROCPRIM_400000_NS6detail17trampoline_kernelINS0_14default_configENS1_25partition_config_selectorILNS1_17partition_subalgoE5EiNS0_10empty_typeEbEEZZNS1_14partition_implILS5_5ELb0ES3_mN6thrust23THRUST_200600_302600_NS17counting_iteratorIiNSA_11use_defaultESC_SC_EEPS6_NSA_18transform_iteratorINSA_8identityIiEENSA_6detail15normal_iteratorINSA_10device_ptrIiEEEESC_SC_EENS0_5tupleIJSM_S6_EEENSO_IJSE_SE_EEES6_PlJS6_EEE10hipError_tPvRmT3_T4_T5_T6_T7_T9_mT8_P12ihipStream_tbDpT10_ENKUlT_T0_E_clISt17integral_constantIbLb0EES1B_EEDaS16_S17_EUlS16_E_NS1_11comp_targetILNS1_3genE9ELNS1_11target_archE1100ELNS1_3gpuE3ELNS1_3repE0EEENS1_30default_config_static_selectorELNS0_4arch9wavefront6targetE1EEEvT1_: ; @_ZN7rocprim17ROCPRIM_400000_NS6detail17trampoline_kernelINS0_14default_configENS1_25partition_config_selectorILNS1_17partition_subalgoE5EiNS0_10empty_typeEbEEZZNS1_14partition_implILS5_5ELb0ES3_mN6thrust23THRUST_200600_302600_NS17counting_iteratorIiNSA_11use_defaultESC_SC_EEPS6_NSA_18transform_iteratorINSA_8identityIiEENSA_6detail15normal_iteratorINSA_10device_ptrIiEEEESC_SC_EENS0_5tupleIJSM_S6_EEENSO_IJSE_SE_EEES6_PlJS6_EEE10hipError_tPvRmT3_T4_T5_T6_T7_T9_mT8_P12ihipStream_tbDpT10_ENKUlT_T0_E_clISt17integral_constantIbLb0EES1B_EEDaS16_S17_EUlS16_E_NS1_11comp_targetILNS1_3genE9ELNS1_11target_archE1100ELNS1_3gpuE3ELNS1_3repE0EEENS1_30default_config_static_selectorELNS0_4arch9wavefront6targetE1EEEvT1_
; %bb.0:
	.section	.rodata,"a",@progbits
	.p2align	6, 0x0
	.amdhsa_kernel _ZN7rocprim17ROCPRIM_400000_NS6detail17trampoline_kernelINS0_14default_configENS1_25partition_config_selectorILNS1_17partition_subalgoE5EiNS0_10empty_typeEbEEZZNS1_14partition_implILS5_5ELb0ES3_mN6thrust23THRUST_200600_302600_NS17counting_iteratorIiNSA_11use_defaultESC_SC_EEPS6_NSA_18transform_iteratorINSA_8identityIiEENSA_6detail15normal_iteratorINSA_10device_ptrIiEEEESC_SC_EENS0_5tupleIJSM_S6_EEENSO_IJSE_SE_EEES6_PlJS6_EEE10hipError_tPvRmT3_T4_T5_T6_T7_T9_mT8_P12ihipStream_tbDpT10_ENKUlT_T0_E_clISt17integral_constantIbLb0EES1B_EEDaS16_S17_EUlS16_E_NS1_11comp_targetILNS1_3genE9ELNS1_11target_archE1100ELNS1_3gpuE3ELNS1_3repE0EEENS1_30default_config_static_selectorELNS0_4arch9wavefront6targetE1EEEvT1_
		.amdhsa_group_segment_fixed_size 0
		.amdhsa_private_segment_fixed_size 0
		.amdhsa_kernarg_size 120
		.amdhsa_user_sgpr_count 6
		.amdhsa_user_sgpr_private_segment_buffer 1
		.amdhsa_user_sgpr_dispatch_ptr 0
		.amdhsa_user_sgpr_queue_ptr 0
		.amdhsa_user_sgpr_kernarg_segment_ptr 1
		.amdhsa_user_sgpr_dispatch_id 0
		.amdhsa_user_sgpr_flat_scratch_init 0
		.amdhsa_user_sgpr_kernarg_preload_length 0
		.amdhsa_user_sgpr_kernarg_preload_offset 0
		.amdhsa_user_sgpr_private_segment_size 0
		.amdhsa_uses_dynamic_stack 0
		.amdhsa_system_sgpr_private_segment_wavefront_offset 0
		.amdhsa_system_sgpr_workgroup_id_x 1
		.amdhsa_system_sgpr_workgroup_id_y 0
		.amdhsa_system_sgpr_workgroup_id_z 0
		.amdhsa_system_sgpr_workgroup_info 0
		.amdhsa_system_vgpr_workitem_id 0
		.amdhsa_next_free_vgpr 1
		.amdhsa_next_free_sgpr 0
		.amdhsa_accum_offset 4
		.amdhsa_reserve_vcc 0
		.amdhsa_reserve_flat_scratch 0
		.amdhsa_float_round_mode_32 0
		.amdhsa_float_round_mode_16_64 0
		.amdhsa_float_denorm_mode_32 3
		.amdhsa_float_denorm_mode_16_64 3
		.amdhsa_dx10_clamp 1
		.amdhsa_ieee_mode 1
		.amdhsa_fp16_overflow 0
		.amdhsa_tg_split 0
		.amdhsa_exception_fp_ieee_invalid_op 0
		.amdhsa_exception_fp_denorm_src 0
		.amdhsa_exception_fp_ieee_div_zero 0
		.amdhsa_exception_fp_ieee_overflow 0
		.amdhsa_exception_fp_ieee_underflow 0
		.amdhsa_exception_fp_ieee_inexact 0
		.amdhsa_exception_int_div_zero 0
	.end_amdhsa_kernel
	.section	.text._ZN7rocprim17ROCPRIM_400000_NS6detail17trampoline_kernelINS0_14default_configENS1_25partition_config_selectorILNS1_17partition_subalgoE5EiNS0_10empty_typeEbEEZZNS1_14partition_implILS5_5ELb0ES3_mN6thrust23THRUST_200600_302600_NS17counting_iteratorIiNSA_11use_defaultESC_SC_EEPS6_NSA_18transform_iteratorINSA_8identityIiEENSA_6detail15normal_iteratorINSA_10device_ptrIiEEEESC_SC_EENS0_5tupleIJSM_S6_EEENSO_IJSE_SE_EEES6_PlJS6_EEE10hipError_tPvRmT3_T4_T5_T6_T7_T9_mT8_P12ihipStream_tbDpT10_ENKUlT_T0_E_clISt17integral_constantIbLb0EES1B_EEDaS16_S17_EUlS16_E_NS1_11comp_targetILNS1_3genE9ELNS1_11target_archE1100ELNS1_3gpuE3ELNS1_3repE0EEENS1_30default_config_static_selectorELNS0_4arch9wavefront6targetE1EEEvT1_,"axG",@progbits,_ZN7rocprim17ROCPRIM_400000_NS6detail17trampoline_kernelINS0_14default_configENS1_25partition_config_selectorILNS1_17partition_subalgoE5EiNS0_10empty_typeEbEEZZNS1_14partition_implILS5_5ELb0ES3_mN6thrust23THRUST_200600_302600_NS17counting_iteratorIiNSA_11use_defaultESC_SC_EEPS6_NSA_18transform_iteratorINSA_8identityIiEENSA_6detail15normal_iteratorINSA_10device_ptrIiEEEESC_SC_EENS0_5tupleIJSM_S6_EEENSO_IJSE_SE_EEES6_PlJS6_EEE10hipError_tPvRmT3_T4_T5_T6_T7_T9_mT8_P12ihipStream_tbDpT10_ENKUlT_T0_E_clISt17integral_constantIbLb0EES1B_EEDaS16_S17_EUlS16_E_NS1_11comp_targetILNS1_3genE9ELNS1_11target_archE1100ELNS1_3gpuE3ELNS1_3repE0EEENS1_30default_config_static_selectorELNS0_4arch9wavefront6targetE1EEEvT1_,comdat
.Lfunc_end8:
	.size	_ZN7rocprim17ROCPRIM_400000_NS6detail17trampoline_kernelINS0_14default_configENS1_25partition_config_selectorILNS1_17partition_subalgoE5EiNS0_10empty_typeEbEEZZNS1_14partition_implILS5_5ELb0ES3_mN6thrust23THRUST_200600_302600_NS17counting_iteratorIiNSA_11use_defaultESC_SC_EEPS6_NSA_18transform_iteratorINSA_8identityIiEENSA_6detail15normal_iteratorINSA_10device_ptrIiEEEESC_SC_EENS0_5tupleIJSM_S6_EEENSO_IJSE_SE_EEES6_PlJS6_EEE10hipError_tPvRmT3_T4_T5_T6_T7_T9_mT8_P12ihipStream_tbDpT10_ENKUlT_T0_E_clISt17integral_constantIbLb0EES1B_EEDaS16_S17_EUlS16_E_NS1_11comp_targetILNS1_3genE9ELNS1_11target_archE1100ELNS1_3gpuE3ELNS1_3repE0EEENS1_30default_config_static_selectorELNS0_4arch9wavefront6targetE1EEEvT1_, .Lfunc_end8-_ZN7rocprim17ROCPRIM_400000_NS6detail17trampoline_kernelINS0_14default_configENS1_25partition_config_selectorILNS1_17partition_subalgoE5EiNS0_10empty_typeEbEEZZNS1_14partition_implILS5_5ELb0ES3_mN6thrust23THRUST_200600_302600_NS17counting_iteratorIiNSA_11use_defaultESC_SC_EEPS6_NSA_18transform_iteratorINSA_8identityIiEENSA_6detail15normal_iteratorINSA_10device_ptrIiEEEESC_SC_EENS0_5tupleIJSM_S6_EEENSO_IJSE_SE_EEES6_PlJS6_EEE10hipError_tPvRmT3_T4_T5_T6_T7_T9_mT8_P12ihipStream_tbDpT10_ENKUlT_T0_E_clISt17integral_constantIbLb0EES1B_EEDaS16_S17_EUlS16_E_NS1_11comp_targetILNS1_3genE9ELNS1_11target_archE1100ELNS1_3gpuE3ELNS1_3repE0EEENS1_30default_config_static_selectorELNS0_4arch9wavefront6targetE1EEEvT1_
                                        ; -- End function
	.section	.AMDGPU.csdata,"",@progbits
; Kernel info:
; codeLenInByte = 0
; NumSgprs: 4
; NumVgprs: 0
; NumAgprs: 0
; TotalNumVgprs: 0
; ScratchSize: 0
; MemoryBound: 0
; FloatMode: 240
; IeeeMode: 1
; LDSByteSize: 0 bytes/workgroup (compile time only)
; SGPRBlocks: 0
; VGPRBlocks: 0
; NumSGPRsForWavesPerEU: 4
; NumVGPRsForWavesPerEU: 1
; AccumOffset: 4
; Occupancy: 8
; WaveLimiterHint : 0
; COMPUTE_PGM_RSRC2:SCRATCH_EN: 0
; COMPUTE_PGM_RSRC2:USER_SGPR: 6
; COMPUTE_PGM_RSRC2:TRAP_HANDLER: 0
; COMPUTE_PGM_RSRC2:TGID_X_EN: 1
; COMPUTE_PGM_RSRC2:TGID_Y_EN: 0
; COMPUTE_PGM_RSRC2:TGID_Z_EN: 0
; COMPUTE_PGM_RSRC2:TIDIG_COMP_CNT: 0
; COMPUTE_PGM_RSRC3_GFX90A:ACCUM_OFFSET: 0
; COMPUTE_PGM_RSRC3_GFX90A:TG_SPLIT: 0
	.section	.text._ZN7rocprim17ROCPRIM_400000_NS6detail17trampoline_kernelINS0_14default_configENS1_25partition_config_selectorILNS1_17partition_subalgoE5EiNS0_10empty_typeEbEEZZNS1_14partition_implILS5_5ELb0ES3_mN6thrust23THRUST_200600_302600_NS17counting_iteratorIiNSA_11use_defaultESC_SC_EEPS6_NSA_18transform_iteratorINSA_8identityIiEENSA_6detail15normal_iteratorINSA_10device_ptrIiEEEESC_SC_EENS0_5tupleIJSM_S6_EEENSO_IJSE_SE_EEES6_PlJS6_EEE10hipError_tPvRmT3_T4_T5_T6_T7_T9_mT8_P12ihipStream_tbDpT10_ENKUlT_T0_E_clISt17integral_constantIbLb0EES1B_EEDaS16_S17_EUlS16_E_NS1_11comp_targetILNS1_3genE8ELNS1_11target_archE1030ELNS1_3gpuE2ELNS1_3repE0EEENS1_30default_config_static_selectorELNS0_4arch9wavefront6targetE1EEEvT1_,"axG",@progbits,_ZN7rocprim17ROCPRIM_400000_NS6detail17trampoline_kernelINS0_14default_configENS1_25partition_config_selectorILNS1_17partition_subalgoE5EiNS0_10empty_typeEbEEZZNS1_14partition_implILS5_5ELb0ES3_mN6thrust23THRUST_200600_302600_NS17counting_iteratorIiNSA_11use_defaultESC_SC_EEPS6_NSA_18transform_iteratorINSA_8identityIiEENSA_6detail15normal_iteratorINSA_10device_ptrIiEEEESC_SC_EENS0_5tupleIJSM_S6_EEENSO_IJSE_SE_EEES6_PlJS6_EEE10hipError_tPvRmT3_T4_T5_T6_T7_T9_mT8_P12ihipStream_tbDpT10_ENKUlT_T0_E_clISt17integral_constantIbLb0EES1B_EEDaS16_S17_EUlS16_E_NS1_11comp_targetILNS1_3genE8ELNS1_11target_archE1030ELNS1_3gpuE2ELNS1_3repE0EEENS1_30default_config_static_selectorELNS0_4arch9wavefront6targetE1EEEvT1_,comdat
	.protected	_ZN7rocprim17ROCPRIM_400000_NS6detail17trampoline_kernelINS0_14default_configENS1_25partition_config_selectorILNS1_17partition_subalgoE5EiNS0_10empty_typeEbEEZZNS1_14partition_implILS5_5ELb0ES3_mN6thrust23THRUST_200600_302600_NS17counting_iteratorIiNSA_11use_defaultESC_SC_EEPS6_NSA_18transform_iteratorINSA_8identityIiEENSA_6detail15normal_iteratorINSA_10device_ptrIiEEEESC_SC_EENS0_5tupleIJSM_S6_EEENSO_IJSE_SE_EEES6_PlJS6_EEE10hipError_tPvRmT3_T4_T5_T6_T7_T9_mT8_P12ihipStream_tbDpT10_ENKUlT_T0_E_clISt17integral_constantIbLb0EES1B_EEDaS16_S17_EUlS16_E_NS1_11comp_targetILNS1_3genE8ELNS1_11target_archE1030ELNS1_3gpuE2ELNS1_3repE0EEENS1_30default_config_static_selectorELNS0_4arch9wavefront6targetE1EEEvT1_ ; -- Begin function _ZN7rocprim17ROCPRIM_400000_NS6detail17trampoline_kernelINS0_14default_configENS1_25partition_config_selectorILNS1_17partition_subalgoE5EiNS0_10empty_typeEbEEZZNS1_14partition_implILS5_5ELb0ES3_mN6thrust23THRUST_200600_302600_NS17counting_iteratorIiNSA_11use_defaultESC_SC_EEPS6_NSA_18transform_iteratorINSA_8identityIiEENSA_6detail15normal_iteratorINSA_10device_ptrIiEEEESC_SC_EENS0_5tupleIJSM_S6_EEENSO_IJSE_SE_EEES6_PlJS6_EEE10hipError_tPvRmT3_T4_T5_T6_T7_T9_mT8_P12ihipStream_tbDpT10_ENKUlT_T0_E_clISt17integral_constantIbLb0EES1B_EEDaS16_S17_EUlS16_E_NS1_11comp_targetILNS1_3genE8ELNS1_11target_archE1030ELNS1_3gpuE2ELNS1_3repE0EEENS1_30default_config_static_selectorELNS0_4arch9wavefront6targetE1EEEvT1_
	.globl	_ZN7rocprim17ROCPRIM_400000_NS6detail17trampoline_kernelINS0_14default_configENS1_25partition_config_selectorILNS1_17partition_subalgoE5EiNS0_10empty_typeEbEEZZNS1_14partition_implILS5_5ELb0ES3_mN6thrust23THRUST_200600_302600_NS17counting_iteratorIiNSA_11use_defaultESC_SC_EEPS6_NSA_18transform_iteratorINSA_8identityIiEENSA_6detail15normal_iteratorINSA_10device_ptrIiEEEESC_SC_EENS0_5tupleIJSM_S6_EEENSO_IJSE_SE_EEES6_PlJS6_EEE10hipError_tPvRmT3_T4_T5_T6_T7_T9_mT8_P12ihipStream_tbDpT10_ENKUlT_T0_E_clISt17integral_constantIbLb0EES1B_EEDaS16_S17_EUlS16_E_NS1_11comp_targetILNS1_3genE8ELNS1_11target_archE1030ELNS1_3gpuE2ELNS1_3repE0EEENS1_30default_config_static_selectorELNS0_4arch9wavefront6targetE1EEEvT1_
	.p2align	8
	.type	_ZN7rocprim17ROCPRIM_400000_NS6detail17trampoline_kernelINS0_14default_configENS1_25partition_config_selectorILNS1_17partition_subalgoE5EiNS0_10empty_typeEbEEZZNS1_14partition_implILS5_5ELb0ES3_mN6thrust23THRUST_200600_302600_NS17counting_iteratorIiNSA_11use_defaultESC_SC_EEPS6_NSA_18transform_iteratorINSA_8identityIiEENSA_6detail15normal_iteratorINSA_10device_ptrIiEEEESC_SC_EENS0_5tupleIJSM_S6_EEENSO_IJSE_SE_EEES6_PlJS6_EEE10hipError_tPvRmT3_T4_T5_T6_T7_T9_mT8_P12ihipStream_tbDpT10_ENKUlT_T0_E_clISt17integral_constantIbLb0EES1B_EEDaS16_S17_EUlS16_E_NS1_11comp_targetILNS1_3genE8ELNS1_11target_archE1030ELNS1_3gpuE2ELNS1_3repE0EEENS1_30default_config_static_selectorELNS0_4arch9wavefront6targetE1EEEvT1_,@function
_ZN7rocprim17ROCPRIM_400000_NS6detail17trampoline_kernelINS0_14default_configENS1_25partition_config_selectorILNS1_17partition_subalgoE5EiNS0_10empty_typeEbEEZZNS1_14partition_implILS5_5ELb0ES3_mN6thrust23THRUST_200600_302600_NS17counting_iteratorIiNSA_11use_defaultESC_SC_EEPS6_NSA_18transform_iteratorINSA_8identityIiEENSA_6detail15normal_iteratorINSA_10device_ptrIiEEEESC_SC_EENS0_5tupleIJSM_S6_EEENSO_IJSE_SE_EEES6_PlJS6_EEE10hipError_tPvRmT3_T4_T5_T6_T7_T9_mT8_P12ihipStream_tbDpT10_ENKUlT_T0_E_clISt17integral_constantIbLb0EES1B_EEDaS16_S17_EUlS16_E_NS1_11comp_targetILNS1_3genE8ELNS1_11target_archE1030ELNS1_3gpuE2ELNS1_3repE0EEENS1_30default_config_static_selectorELNS0_4arch9wavefront6targetE1EEEvT1_: ; @_ZN7rocprim17ROCPRIM_400000_NS6detail17trampoline_kernelINS0_14default_configENS1_25partition_config_selectorILNS1_17partition_subalgoE5EiNS0_10empty_typeEbEEZZNS1_14partition_implILS5_5ELb0ES3_mN6thrust23THRUST_200600_302600_NS17counting_iteratorIiNSA_11use_defaultESC_SC_EEPS6_NSA_18transform_iteratorINSA_8identityIiEENSA_6detail15normal_iteratorINSA_10device_ptrIiEEEESC_SC_EENS0_5tupleIJSM_S6_EEENSO_IJSE_SE_EEES6_PlJS6_EEE10hipError_tPvRmT3_T4_T5_T6_T7_T9_mT8_P12ihipStream_tbDpT10_ENKUlT_T0_E_clISt17integral_constantIbLb0EES1B_EEDaS16_S17_EUlS16_E_NS1_11comp_targetILNS1_3genE8ELNS1_11target_archE1030ELNS1_3gpuE2ELNS1_3repE0EEENS1_30default_config_static_selectorELNS0_4arch9wavefront6targetE1EEEvT1_
; %bb.0:
	.section	.rodata,"a",@progbits
	.p2align	6, 0x0
	.amdhsa_kernel _ZN7rocprim17ROCPRIM_400000_NS6detail17trampoline_kernelINS0_14default_configENS1_25partition_config_selectorILNS1_17partition_subalgoE5EiNS0_10empty_typeEbEEZZNS1_14partition_implILS5_5ELb0ES3_mN6thrust23THRUST_200600_302600_NS17counting_iteratorIiNSA_11use_defaultESC_SC_EEPS6_NSA_18transform_iteratorINSA_8identityIiEENSA_6detail15normal_iteratorINSA_10device_ptrIiEEEESC_SC_EENS0_5tupleIJSM_S6_EEENSO_IJSE_SE_EEES6_PlJS6_EEE10hipError_tPvRmT3_T4_T5_T6_T7_T9_mT8_P12ihipStream_tbDpT10_ENKUlT_T0_E_clISt17integral_constantIbLb0EES1B_EEDaS16_S17_EUlS16_E_NS1_11comp_targetILNS1_3genE8ELNS1_11target_archE1030ELNS1_3gpuE2ELNS1_3repE0EEENS1_30default_config_static_selectorELNS0_4arch9wavefront6targetE1EEEvT1_
		.amdhsa_group_segment_fixed_size 0
		.amdhsa_private_segment_fixed_size 0
		.amdhsa_kernarg_size 120
		.amdhsa_user_sgpr_count 6
		.amdhsa_user_sgpr_private_segment_buffer 1
		.amdhsa_user_sgpr_dispatch_ptr 0
		.amdhsa_user_sgpr_queue_ptr 0
		.amdhsa_user_sgpr_kernarg_segment_ptr 1
		.amdhsa_user_sgpr_dispatch_id 0
		.amdhsa_user_sgpr_flat_scratch_init 0
		.amdhsa_user_sgpr_kernarg_preload_length 0
		.amdhsa_user_sgpr_kernarg_preload_offset 0
		.amdhsa_user_sgpr_private_segment_size 0
		.amdhsa_uses_dynamic_stack 0
		.amdhsa_system_sgpr_private_segment_wavefront_offset 0
		.amdhsa_system_sgpr_workgroup_id_x 1
		.amdhsa_system_sgpr_workgroup_id_y 0
		.amdhsa_system_sgpr_workgroup_id_z 0
		.amdhsa_system_sgpr_workgroup_info 0
		.amdhsa_system_vgpr_workitem_id 0
		.amdhsa_next_free_vgpr 1
		.amdhsa_next_free_sgpr 0
		.amdhsa_accum_offset 4
		.amdhsa_reserve_vcc 0
		.amdhsa_reserve_flat_scratch 0
		.amdhsa_float_round_mode_32 0
		.amdhsa_float_round_mode_16_64 0
		.amdhsa_float_denorm_mode_32 3
		.amdhsa_float_denorm_mode_16_64 3
		.amdhsa_dx10_clamp 1
		.amdhsa_ieee_mode 1
		.amdhsa_fp16_overflow 0
		.amdhsa_tg_split 0
		.amdhsa_exception_fp_ieee_invalid_op 0
		.amdhsa_exception_fp_denorm_src 0
		.amdhsa_exception_fp_ieee_div_zero 0
		.amdhsa_exception_fp_ieee_overflow 0
		.amdhsa_exception_fp_ieee_underflow 0
		.amdhsa_exception_fp_ieee_inexact 0
		.amdhsa_exception_int_div_zero 0
	.end_amdhsa_kernel
	.section	.text._ZN7rocprim17ROCPRIM_400000_NS6detail17trampoline_kernelINS0_14default_configENS1_25partition_config_selectorILNS1_17partition_subalgoE5EiNS0_10empty_typeEbEEZZNS1_14partition_implILS5_5ELb0ES3_mN6thrust23THRUST_200600_302600_NS17counting_iteratorIiNSA_11use_defaultESC_SC_EEPS6_NSA_18transform_iteratorINSA_8identityIiEENSA_6detail15normal_iteratorINSA_10device_ptrIiEEEESC_SC_EENS0_5tupleIJSM_S6_EEENSO_IJSE_SE_EEES6_PlJS6_EEE10hipError_tPvRmT3_T4_T5_T6_T7_T9_mT8_P12ihipStream_tbDpT10_ENKUlT_T0_E_clISt17integral_constantIbLb0EES1B_EEDaS16_S17_EUlS16_E_NS1_11comp_targetILNS1_3genE8ELNS1_11target_archE1030ELNS1_3gpuE2ELNS1_3repE0EEENS1_30default_config_static_selectorELNS0_4arch9wavefront6targetE1EEEvT1_,"axG",@progbits,_ZN7rocprim17ROCPRIM_400000_NS6detail17trampoline_kernelINS0_14default_configENS1_25partition_config_selectorILNS1_17partition_subalgoE5EiNS0_10empty_typeEbEEZZNS1_14partition_implILS5_5ELb0ES3_mN6thrust23THRUST_200600_302600_NS17counting_iteratorIiNSA_11use_defaultESC_SC_EEPS6_NSA_18transform_iteratorINSA_8identityIiEENSA_6detail15normal_iteratorINSA_10device_ptrIiEEEESC_SC_EENS0_5tupleIJSM_S6_EEENSO_IJSE_SE_EEES6_PlJS6_EEE10hipError_tPvRmT3_T4_T5_T6_T7_T9_mT8_P12ihipStream_tbDpT10_ENKUlT_T0_E_clISt17integral_constantIbLb0EES1B_EEDaS16_S17_EUlS16_E_NS1_11comp_targetILNS1_3genE8ELNS1_11target_archE1030ELNS1_3gpuE2ELNS1_3repE0EEENS1_30default_config_static_selectorELNS0_4arch9wavefront6targetE1EEEvT1_,comdat
.Lfunc_end9:
	.size	_ZN7rocprim17ROCPRIM_400000_NS6detail17trampoline_kernelINS0_14default_configENS1_25partition_config_selectorILNS1_17partition_subalgoE5EiNS0_10empty_typeEbEEZZNS1_14partition_implILS5_5ELb0ES3_mN6thrust23THRUST_200600_302600_NS17counting_iteratorIiNSA_11use_defaultESC_SC_EEPS6_NSA_18transform_iteratorINSA_8identityIiEENSA_6detail15normal_iteratorINSA_10device_ptrIiEEEESC_SC_EENS0_5tupleIJSM_S6_EEENSO_IJSE_SE_EEES6_PlJS6_EEE10hipError_tPvRmT3_T4_T5_T6_T7_T9_mT8_P12ihipStream_tbDpT10_ENKUlT_T0_E_clISt17integral_constantIbLb0EES1B_EEDaS16_S17_EUlS16_E_NS1_11comp_targetILNS1_3genE8ELNS1_11target_archE1030ELNS1_3gpuE2ELNS1_3repE0EEENS1_30default_config_static_selectorELNS0_4arch9wavefront6targetE1EEEvT1_, .Lfunc_end9-_ZN7rocprim17ROCPRIM_400000_NS6detail17trampoline_kernelINS0_14default_configENS1_25partition_config_selectorILNS1_17partition_subalgoE5EiNS0_10empty_typeEbEEZZNS1_14partition_implILS5_5ELb0ES3_mN6thrust23THRUST_200600_302600_NS17counting_iteratorIiNSA_11use_defaultESC_SC_EEPS6_NSA_18transform_iteratorINSA_8identityIiEENSA_6detail15normal_iteratorINSA_10device_ptrIiEEEESC_SC_EENS0_5tupleIJSM_S6_EEENSO_IJSE_SE_EEES6_PlJS6_EEE10hipError_tPvRmT3_T4_T5_T6_T7_T9_mT8_P12ihipStream_tbDpT10_ENKUlT_T0_E_clISt17integral_constantIbLb0EES1B_EEDaS16_S17_EUlS16_E_NS1_11comp_targetILNS1_3genE8ELNS1_11target_archE1030ELNS1_3gpuE2ELNS1_3repE0EEENS1_30default_config_static_selectorELNS0_4arch9wavefront6targetE1EEEvT1_
                                        ; -- End function
	.section	.AMDGPU.csdata,"",@progbits
; Kernel info:
; codeLenInByte = 0
; NumSgprs: 4
; NumVgprs: 0
; NumAgprs: 0
; TotalNumVgprs: 0
; ScratchSize: 0
; MemoryBound: 0
; FloatMode: 240
; IeeeMode: 1
; LDSByteSize: 0 bytes/workgroup (compile time only)
; SGPRBlocks: 0
; VGPRBlocks: 0
; NumSGPRsForWavesPerEU: 4
; NumVGPRsForWavesPerEU: 1
; AccumOffset: 4
; Occupancy: 8
; WaveLimiterHint : 0
; COMPUTE_PGM_RSRC2:SCRATCH_EN: 0
; COMPUTE_PGM_RSRC2:USER_SGPR: 6
; COMPUTE_PGM_RSRC2:TRAP_HANDLER: 0
; COMPUTE_PGM_RSRC2:TGID_X_EN: 1
; COMPUTE_PGM_RSRC2:TGID_Y_EN: 0
; COMPUTE_PGM_RSRC2:TGID_Z_EN: 0
; COMPUTE_PGM_RSRC2:TIDIG_COMP_CNT: 0
; COMPUTE_PGM_RSRC3_GFX90A:ACCUM_OFFSET: 0
; COMPUTE_PGM_RSRC3_GFX90A:TG_SPLIT: 0
	.section	.text._ZN7rocprim17ROCPRIM_400000_NS6detail17trampoline_kernelINS0_14default_configENS1_25transform_config_selectorImLb1EEEZNS1_14transform_implILb1ES3_S5_PmPlNS0_8identityIvEEEE10hipError_tT2_T3_mT4_P12ihipStream_tbEUlT_E_NS1_11comp_targetILNS1_3genE0ELNS1_11target_archE4294967295ELNS1_3gpuE0ELNS1_3repE0EEENS1_30default_config_static_selectorELNS0_4arch9wavefront6targetE1EEEvT1_,"axG",@progbits,_ZN7rocprim17ROCPRIM_400000_NS6detail17trampoline_kernelINS0_14default_configENS1_25transform_config_selectorImLb1EEEZNS1_14transform_implILb1ES3_S5_PmPlNS0_8identityIvEEEE10hipError_tT2_T3_mT4_P12ihipStream_tbEUlT_E_NS1_11comp_targetILNS1_3genE0ELNS1_11target_archE4294967295ELNS1_3gpuE0ELNS1_3repE0EEENS1_30default_config_static_selectorELNS0_4arch9wavefront6targetE1EEEvT1_,comdat
	.protected	_ZN7rocprim17ROCPRIM_400000_NS6detail17trampoline_kernelINS0_14default_configENS1_25transform_config_selectorImLb1EEEZNS1_14transform_implILb1ES3_S5_PmPlNS0_8identityIvEEEE10hipError_tT2_T3_mT4_P12ihipStream_tbEUlT_E_NS1_11comp_targetILNS1_3genE0ELNS1_11target_archE4294967295ELNS1_3gpuE0ELNS1_3repE0EEENS1_30default_config_static_selectorELNS0_4arch9wavefront6targetE1EEEvT1_ ; -- Begin function _ZN7rocprim17ROCPRIM_400000_NS6detail17trampoline_kernelINS0_14default_configENS1_25transform_config_selectorImLb1EEEZNS1_14transform_implILb1ES3_S5_PmPlNS0_8identityIvEEEE10hipError_tT2_T3_mT4_P12ihipStream_tbEUlT_E_NS1_11comp_targetILNS1_3genE0ELNS1_11target_archE4294967295ELNS1_3gpuE0ELNS1_3repE0EEENS1_30default_config_static_selectorELNS0_4arch9wavefront6targetE1EEEvT1_
	.globl	_ZN7rocprim17ROCPRIM_400000_NS6detail17trampoline_kernelINS0_14default_configENS1_25transform_config_selectorImLb1EEEZNS1_14transform_implILb1ES3_S5_PmPlNS0_8identityIvEEEE10hipError_tT2_T3_mT4_P12ihipStream_tbEUlT_E_NS1_11comp_targetILNS1_3genE0ELNS1_11target_archE4294967295ELNS1_3gpuE0ELNS1_3repE0EEENS1_30default_config_static_selectorELNS0_4arch9wavefront6targetE1EEEvT1_
	.p2align	8
	.type	_ZN7rocprim17ROCPRIM_400000_NS6detail17trampoline_kernelINS0_14default_configENS1_25transform_config_selectorImLb1EEEZNS1_14transform_implILb1ES3_S5_PmPlNS0_8identityIvEEEE10hipError_tT2_T3_mT4_P12ihipStream_tbEUlT_E_NS1_11comp_targetILNS1_3genE0ELNS1_11target_archE4294967295ELNS1_3gpuE0ELNS1_3repE0EEENS1_30default_config_static_selectorELNS0_4arch9wavefront6targetE1EEEvT1_,@function
_ZN7rocprim17ROCPRIM_400000_NS6detail17trampoline_kernelINS0_14default_configENS1_25transform_config_selectorImLb1EEEZNS1_14transform_implILb1ES3_S5_PmPlNS0_8identityIvEEEE10hipError_tT2_T3_mT4_P12ihipStream_tbEUlT_E_NS1_11comp_targetILNS1_3genE0ELNS1_11target_archE4294967295ELNS1_3gpuE0ELNS1_3repE0EEENS1_30default_config_static_selectorELNS0_4arch9wavefront6targetE1EEEvT1_: ; @_ZN7rocprim17ROCPRIM_400000_NS6detail17trampoline_kernelINS0_14default_configENS1_25transform_config_selectorImLb1EEEZNS1_14transform_implILb1ES3_S5_PmPlNS0_8identityIvEEEE10hipError_tT2_T3_mT4_P12ihipStream_tbEUlT_E_NS1_11comp_targetILNS1_3genE0ELNS1_11target_archE4294967295ELNS1_3gpuE0ELNS1_3repE0EEENS1_30default_config_static_selectorELNS0_4arch9wavefront6targetE1EEEvT1_
; %bb.0:
	.section	.rodata,"a",@progbits
	.p2align	6, 0x0
	.amdhsa_kernel _ZN7rocprim17ROCPRIM_400000_NS6detail17trampoline_kernelINS0_14default_configENS1_25transform_config_selectorImLb1EEEZNS1_14transform_implILb1ES3_S5_PmPlNS0_8identityIvEEEE10hipError_tT2_T3_mT4_P12ihipStream_tbEUlT_E_NS1_11comp_targetILNS1_3genE0ELNS1_11target_archE4294967295ELNS1_3gpuE0ELNS1_3repE0EEENS1_30default_config_static_selectorELNS0_4arch9wavefront6targetE1EEEvT1_
		.amdhsa_group_segment_fixed_size 0
		.amdhsa_private_segment_fixed_size 0
		.amdhsa_kernarg_size 40
		.amdhsa_user_sgpr_count 6
		.amdhsa_user_sgpr_private_segment_buffer 1
		.amdhsa_user_sgpr_dispatch_ptr 0
		.amdhsa_user_sgpr_queue_ptr 0
		.amdhsa_user_sgpr_kernarg_segment_ptr 1
		.amdhsa_user_sgpr_dispatch_id 0
		.amdhsa_user_sgpr_flat_scratch_init 0
		.amdhsa_user_sgpr_kernarg_preload_length 0
		.amdhsa_user_sgpr_kernarg_preload_offset 0
		.amdhsa_user_sgpr_private_segment_size 0
		.amdhsa_uses_dynamic_stack 0
		.amdhsa_system_sgpr_private_segment_wavefront_offset 0
		.amdhsa_system_sgpr_workgroup_id_x 1
		.amdhsa_system_sgpr_workgroup_id_y 0
		.amdhsa_system_sgpr_workgroup_id_z 0
		.amdhsa_system_sgpr_workgroup_info 0
		.amdhsa_system_vgpr_workitem_id 0
		.amdhsa_next_free_vgpr 1
		.amdhsa_next_free_sgpr 0
		.amdhsa_accum_offset 4
		.amdhsa_reserve_vcc 0
		.amdhsa_reserve_flat_scratch 0
		.amdhsa_float_round_mode_32 0
		.amdhsa_float_round_mode_16_64 0
		.amdhsa_float_denorm_mode_32 3
		.amdhsa_float_denorm_mode_16_64 3
		.amdhsa_dx10_clamp 1
		.amdhsa_ieee_mode 1
		.amdhsa_fp16_overflow 0
		.amdhsa_tg_split 0
		.amdhsa_exception_fp_ieee_invalid_op 0
		.amdhsa_exception_fp_denorm_src 0
		.amdhsa_exception_fp_ieee_div_zero 0
		.amdhsa_exception_fp_ieee_overflow 0
		.amdhsa_exception_fp_ieee_underflow 0
		.amdhsa_exception_fp_ieee_inexact 0
		.amdhsa_exception_int_div_zero 0
	.end_amdhsa_kernel
	.section	.text._ZN7rocprim17ROCPRIM_400000_NS6detail17trampoline_kernelINS0_14default_configENS1_25transform_config_selectorImLb1EEEZNS1_14transform_implILb1ES3_S5_PmPlNS0_8identityIvEEEE10hipError_tT2_T3_mT4_P12ihipStream_tbEUlT_E_NS1_11comp_targetILNS1_3genE0ELNS1_11target_archE4294967295ELNS1_3gpuE0ELNS1_3repE0EEENS1_30default_config_static_selectorELNS0_4arch9wavefront6targetE1EEEvT1_,"axG",@progbits,_ZN7rocprim17ROCPRIM_400000_NS6detail17trampoline_kernelINS0_14default_configENS1_25transform_config_selectorImLb1EEEZNS1_14transform_implILb1ES3_S5_PmPlNS0_8identityIvEEEE10hipError_tT2_T3_mT4_P12ihipStream_tbEUlT_E_NS1_11comp_targetILNS1_3genE0ELNS1_11target_archE4294967295ELNS1_3gpuE0ELNS1_3repE0EEENS1_30default_config_static_selectorELNS0_4arch9wavefront6targetE1EEEvT1_,comdat
.Lfunc_end10:
	.size	_ZN7rocprim17ROCPRIM_400000_NS6detail17trampoline_kernelINS0_14default_configENS1_25transform_config_selectorImLb1EEEZNS1_14transform_implILb1ES3_S5_PmPlNS0_8identityIvEEEE10hipError_tT2_T3_mT4_P12ihipStream_tbEUlT_E_NS1_11comp_targetILNS1_3genE0ELNS1_11target_archE4294967295ELNS1_3gpuE0ELNS1_3repE0EEENS1_30default_config_static_selectorELNS0_4arch9wavefront6targetE1EEEvT1_, .Lfunc_end10-_ZN7rocprim17ROCPRIM_400000_NS6detail17trampoline_kernelINS0_14default_configENS1_25transform_config_selectorImLb1EEEZNS1_14transform_implILb1ES3_S5_PmPlNS0_8identityIvEEEE10hipError_tT2_T3_mT4_P12ihipStream_tbEUlT_E_NS1_11comp_targetILNS1_3genE0ELNS1_11target_archE4294967295ELNS1_3gpuE0ELNS1_3repE0EEENS1_30default_config_static_selectorELNS0_4arch9wavefront6targetE1EEEvT1_
                                        ; -- End function
	.section	.AMDGPU.csdata,"",@progbits
; Kernel info:
; codeLenInByte = 0
; NumSgprs: 4
; NumVgprs: 0
; NumAgprs: 0
; TotalNumVgprs: 0
; ScratchSize: 0
; MemoryBound: 0
; FloatMode: 240
; IeeeMode: 1
; LDSByteSize: 0 bytes/workgroup (compile time only)
; SGPRBlocks: 0
; VGPRBlocks: 0
; NumSGPRsForWavesPerEU: 4
; NumVGPRsForWavesPerEU: 1
; AccumOffset: 4
; Occupancy: 8
; WaveLimiterHint : 0
; COMPUTE_PGM_RSRC2:SCRATCH_EN: 0
; COMPUTE_PGM_RSRC2:USER_SGPR: 6
; COMPUTE_PGM_RSRC2:TRAP_HANDLER: 0
; COMPUTE_PGM_RSRC2:TGID_X_EN: 1
; COMPUTE_PGM_RSRC2:TGID_Y_EN: 0
; COMPUTE_PGM_RSRC2:TGID_Z_EN: 0
; COMPUTE_PGM_RSRC2:TIDIG_COMP_CNT: 0
; COMPUTE_PGM_RSRC3_GFX90A:ACCUM_OFFSET: 0
; COMPUTE_PGM_RSRC3_GFX90A:TG_SPLIT: 0
	.section	.text._ZN7rocprim17ROCPRIM_400000_NS6detail17trampoline_kernelINS0_14default_configENS1_25transform_config_selectorImLb1EEEZNS1_14transform_implILb1ES3_S5_PmPlNS0_8identityIvEEEE10hipError_tT2_T3_mT4_P12ihipStream_tbEUlT_E_NS1_11comp_targetILNS1_3genE10ELNS1_11target_archE1201ELNS1_3gpuE5ELNS1_3repE0EEENS1_30default_config_static_selectorELNS0_4arch9wavefront6targetE1EEEvT1_,"axG",@progbits,_ZN7rocprim17ROCPRIM_400000_NS6detail17trampoline_kernelINS0_14default_configENS1_25transform_config_selectorImLb1EEEZNS1_14transform_implILb1ES3_S5_PmPlNS0_8identityIvEEEE10hipError_tT2_T3_mT4_P12ihipStream_tbEUlT_E_NS1_11comp_targetILNS1_3genE10ELNS1_11target_archE1201ELNS1_3gpuE5ELNS1_3repE0EEENS1_30default_config_static_selectorELNS0_4arch9wavefront6targetE1EEEvT1_,comdat
	.protected	_ZN7rocprim17ROCPRIM_400000_NS6detail17trampoline_kernelINS0_14default_configENS1_25transform_config_selectorImLb1EEEZNS1_14transform_implILb1ES3_S5_PmPlNS0_8identityIvEEEE10hipError_tT2_T3_mT4_P12ihipStream_tbEUlT_E_NS1_11comp_targetILNS1_3genE10ELNS1_11target_archE1201ELNS1_3gpuE5ELNS1_3repE0EEENS1_30default_config_static_selectorELNS0_4arch9wavefront6targetE1EEEvT1_ ; -- Begin function _ZN7rocprim17ROCPRIM_400000_NS6detail17trampoline_kernelINS0_14default_configENS1_25transform_config_selectorImLb1EEEZNS1_14transform_implILb1ES3_S5_PmPlNS0_8identityIvEEEE10hipError_tT2_T3_mT4_P12ihipStream_tbEUlT_E_NS1_11comp_targetILNS1_3genE10ELNS1_11target_archE1201ELNS1_3gpuE5ELNS1_3repE0EEENS1_30default_config_static_selectorELNS0_4arch9wavefront6targetE1EEEvT1_
	.globl	_ZN7rocprim17ROCPRIM_400000_NS6detail17trampoline_kernelINS0_14default_configENS1_25transform_config_selectorImLb1EEEZNS1_14transform_implILb1ES3_S5_PmPlNS0_8identityIvEEEE10hipError_tT2_T3_mT4_P12ihipStream_tbEUlT_E_NS1_11comp_targetILNS1_3genE10ELNS1_11target_archE1201ELNS1_3gpuE5ELNS1_3repE0EEENS1_30default_config_static_selectorELNS0_4arch9wavefront6targetE1EEEvT1_
	.p2align	8
	.type	_ZN7rocprim17ROCPRIM_400000_NS6detail17trampoline_kernelINS0_14default_configENS1_25transform_config_selectorImLb1EEEZNS1_14transform_implILb1ES3_S5_PmPlNS0_8identityIvEEEE10hipError_tT2_T3_mT4_P12ihipStream_tbEUlT_E_NS1_11comp_targetILNS1_3genE10ELNS1_11target_archE1201ELNS1_3gpuE5ELNS1_3repE0EEENS1_30default_config_static_selectorELNS0_4arch9wavefront6targetE1EEEvT1_,@function
_ZN7rocprim17ROCPRIM_400000_NS6detail17trampoline_kernelINS0_14default_configENS1_25transform_config_selectorImLb1EEEZNS1_14transform_implILb1ES3_S5_PmPlNS0_8identityIvEEEE10hipError_tT2_T3_mT4_P12ihipStream_tbEUlT_E_NS1_11comp_targetILNS1_3genE10ELNS1_11target_archE1201ELNS1_3gpuE5ELNS1_3repE0EEENS1_30default_config_static_selectorELNS0_4arch9wavefront6targetE1EEEvT1_: ; @_ZN7rocprim17ROCPRIM_400000_NS6detail17trampoline_kernelINS0_14default_configENS1_25transform_config_selectorImLb1EEEZNS1_14transform_implILb1ES3_S5_PmPlNS0_8identityIvEEEE10hipError_tT2_T3_mT4_P12ihipStream_tbEUlT_E_NS1_11comp_targetILNS1_3genE10ELNS1_11target_archE1201ELNS1_3gpuE5ELNS1_3repE0EEENS1_30default_config_static_selectorELNS0_4arch9wavefront6targetE1EEEvT1_
; %bb.0:
	.section	.rodata,"a",@progbits
	.p2align	6, 0x0
	.amdhsa_kernel _ZN7rocprim17ROCPRIM_400000_NS6detail17trampoline_kernelINS0_14default_configENS1_25transform_config_selectorImLb1EEEZNS1_14transform_implILb1ES3_S5_PmPlNS0_8identityIvEEEE10hipError_tT2_T3_mT4_P12ihipStream_tbEUlT_E_NS1_11comp_targetILNS1_3genE10ELNS1_11target_archE1201ELNS1_3gpuE5ELNS1_3repE0EEENS1_30default_config_static_selectorELNS0_4arch9wavefront6targetE1EEEvT1_
		.amdhsa_group_segment_fixed_size 0
		.amdhsa_private_segment_fixed_size 0
		.amdhsa_kernarg_size 40
		.amdhsa_user_sgpr_count 6
		.amdhsa_user_sgpr_private_segment_buffer 1
		.amdhsa_user_sgpr_dispatch_ptr 0
		.amdhsa_user_sgpr_queue_ptr 0
		.amdhsa_user_sgpr_kernarg_segment_ptr 1
		.amdhsa_user_sgpr_dispatch_id 0
		.amdhsa_user_sgpr_flat_scratch_init 0
		.amdhsa_user_sgpr_kernarg_preload_length 0
		.amdhsa_user_sgpr_kernarg_preload_offset 0
		.amdhsa_user_sgpr_private_segment_size 0
		.amdhsa_uses_dynamic_stack 0
		.amdhsa_system_sgpr_private_segment_wavefront_offset 0
		.amdhsa_system_sgpr_workgroup_id_x 1
		.amdhsa_system_sgpr_workgroup_id_y 0
		.amdhsa_system_sgpr_workgroup_id_z 0
		.amdhsa_system_sgpr_workgroup_info 0
		.amdhsa_system_vgpr_workitem_id 0
		.amdhsa_next_free_vgpr 1
		.amdhsa_next_free_sgpr 0
		.amdhsa_accum_offset 4
		.amdhsa_reserve_vcc 0
		.amdhsa_reserve_flat_scratch 0
		.amdhsa_float_round_mode_32 0
		.amdhsa_float_round_mode_16_64 0
		.amdhsa_float_denorm_mode_32 3
		.amdhsa_float_denorm_mode_16_64 3
		.amdhsa_dx10_clamp 1
		.amdhsa_ieee_mode 1
		.amdhsa_fp16_overflow 0
		.amdhsa_tg_split 0
		.amdhsa_exception_fp_ieee_invalid_op 0
		.amdhsa_exception_fp_denorm_src 0
		.amdhsa_exception_fp_ieee_div_zero 0
		.amdhsa_exception_fp_ieee_overflow 0
		.amdhsa_exception_fp_ieee_underflow 0
		.amdhsa_exception_fp_ieee_inexact 0
		.amdhsa_exception_int_div_zero 0
	.end_amdhsa_kernel
	.section	.text._ZN7rocprim17ROCPRIM_400000_NS6detail17trampoline_kernelINS0_14default_configENS1_25transform_config_selectorImLb1EEEZNS1_14transform_implILb1ES3_S5_PmPlNS0_8identityIvEEEE10hipError_tT2_T3_mT4_P12ihipStream_tbEUlT_E_NS1_11comp_targetILNS1_3genE10ELNS1_11target_archE1201ELNS1_3gpuE5ELNS1_3repE0EEENS1_30default_config_static_selectorELNS0_4arch9wavefront6targetE1EEEvT1_,"axG",@progbits,_ZN7rocprim17ROCPRIM_400000_NS6detail17trampoline_kernelINS0_14default_configENS1_25transform_config_selectorImLb1EEEZNS1_14transform_implILb1ES3_S5_PmPlNS0_8identityIvEEEE10hipError_tT2_T3_mT4_P12ihipStream_tbEUlT_E_NS1_11comp_targetILNS1_3genE10ELNS1_11target_archE1201ELNS1_3gpuE5ELNS1_3repE0EEENS1_30default_config_static_selectorELNS0_4arch9wavefront6targetE1EEEvT1_,comdat
.Lfunc_end11:
	.size	_ZN7rocprim17ROCPRIM_400000_NS6detail17trampoline_kernelINS0_14default_configENS1_25transform_config_selectorImLb1EEEZNS1_14transform_implILb1ES3_S5_PmPlNS0_8identityIvEEEE10hipError_tT2_T3_mT4_P12ihipStream_tbEUlT_E_NS1_11comp_targetILNS1_3genE10ELNS1_11target_archE1201ELNS1_3gpuE5ELNS1_3repE0EEENS1_30default_config_static_selectorELNS0_4arch9wavefront6targetE1EEEvT1_, .Lfunc_end11-_ZN7rocprim17ROCPRIM_400000_NS6detail17trampoline_kernelINS0_14default_configENS1_25transform_config_selectorImLb1EEEZNS1_14transform_implILb1ES3_S5_PmPlNS0_8identityIvEEEE10hipError_tT2_T3_mT4_P12ihipStream_tbEUlT_E_NS1_11comp_targetILNS1_3genE10ELNS1_11target_archE1201ELNS1_3gpuE5ELNS1_3repE0EEENS1_30default_config_static_selectorELNS0_4arch9wavefront6targetE1EEEvT1_
                                        ; -- End function
	.section	.AMDGPU.csdata,"",@progbits
; Kernel info:
; codeLenInByte = 0
; NumSgprs: 4
; NumVgprs: 0
; NumAgprs: 0
; TotalNumVgprs: 0
; ScratchSize: 0
; MemoryBound: 0
; FloatMode: 240
; IeeeMode: 1
; LDSByteSize: 0 bytes/workgroup (compile time only)
; SGPRBlocks: 0
; VGPRBlocks: 0
; NumSGPRsForWavesPerEU: 4
; NumVGPRsForWavesPerEU: 1
; AccumOffset: 4
; Occupancy: 8
; WaveLimiterHint : 0
; COMPUTE_PGM_RSRC2:SCRATCH_EN: 0
; COMPUTE_PGM_RSRC2:USER_SGPR: 6
; COMPUTE_PGM_RSRC2:TRAP_HANDLER: 0
; COMPUTE_PGM_RSRC2:TGID_X_EN: 1
; COMPUTE_PGM_RSRC2:TGID_Y_EN: 0
; COMPUTE_PGM_RSRC2:TGID_Z_EN: 0
; COMPUTE_PGM_RSRC2:TIDIG_COMP_CNT: 0
; COMPUTE_PGM_RSRC3_GFX90A:ACCUM_OFFSET: 0
; COMPUTE_PGM_RSRC3_GFX90A:TG_SPLIT: 0
	.section	.text._ZN7rocprim17ROCPRIM_400000_NS6detail17trampoline_kernelINS0_14default_configENS1_25transform_config_selectorImLb1EEEZNS1_14transform_implILb1ES3_S5_PmPlNS0_8identityIvEEEE10hipError_tT2_T3_mT4_P12ihipStream_tbEUlT_E_NS1_11comp_targetILNS1_3genE5ELNS1_11target_archE942ELNS1_3gpuE9ELNS1_3repE0EEENS1_30default_config_static_selectorELNS0_4arch9wavefront6targetE1EEEvT1_,"axG",@progbits,_ZN7rocprim17ROCPRIM_400000_NS6detail17trampoline_kernelINS0_14default_configENS1_25transform_config_selectorImLb1EEEZNS1_14transform_implILb1ES3_S5_PmPlNS0_8identityIvEEEE10hipError_tT2_T3_mT4_P12ihipStream_tbEUlT_E_NS1_11comp_targetILNS1_3genE5ELNS1_11target_archE942ELNS1_3gpuE9ELNS1_3repE0EEENS1_30default_config_static_selectorELNS0_4arch9wavefront6targetE1EEEvT1_,comdat
	.protected	_ZN7rocprim17ROCPRIM_400000_NS6detail17trampoline_kernelINS0_14default_configENS1_25transform_config_selectorImLb1EEEZNS1_14transform_implILb1ES3_S5_PmPlNS0_8identityIvEEEE10hipError_tT2_T3_mT4_P12ihipStream_tbEUlT_E_NS1_11comp_targetILNS1_3genE5ELNS1_11target_archE942ELNS1_3gpuE9ELNS1_3repE0EEENS1_30default_config_static_selectorELNS0_4arch9wavefront6targetE1EEEvT1_ ; -- Begin function _ZN7rocprim17ROCPRIM_400000_NS6detail17trampoline_kernelINS0_14default_configENS1_25transform_config_selectorImLb1EEEZNS1_14transform_implILb1ES3_S5_PmPlNS0_8identityIvEEEE10hipError_tT2_T3_mT4_P12ihipStream_tbEUlT_E_NS1_11comp_targetILNS1_3genE5ELNS1_11target_archE942ELNS1_3gpuE9ELNS1_3repE0EEENS1_30default_config_static_selectorELNS0_4arch9wavefront6targetE1EEEvT1_
	.globl	_ZN7rocprim17ROCPRIM_400000_NS6detail17trampoline_kernelINS0_14default_configENS1_25transform_config_selectorImLb1EEEZNS1_14transform_implILb1ES3_S5_PmPlNS0_8identityIvEEEE10hipError_tT2_T3_mT4_P12ihipStream_tbEUlT_E_NS1_11comp_targetILNS1_3genE5ELNS1_11target_archE942ELNS1_3gpuE9ELNS1_3repE0EEENS1_30default_config_static_selectorELNS0_4arch9wavefront6targetE1EEEvT1_
	.p2align	8
	.type	_ZN7rocprim17ROCPRIM_400000_NS6detail17trampoline_kernelINS0_14default_configENS1_25transform_config_selectorImLb1EEEZNS1_14transform_implILb1ES3_S5_PmPlNS0_8identityIvEEEE10hipError_tT2_T3_mT4_P12ihipStream_tbEUlT_E_NS1_11comp_targetILNS1_3genE5ELNS1_11target_archE942ELNS1_3gpuE9ELNS1_3repE0EEENS1_30default_config_static_selectorELNS0_4arch9wavefront6targetE1EEEvT1_,@function
_ZN7rocprim17ROCPRIM_400000_NS6detail17trampoline_kernelINS0_14default_configENS1_25transform_config_selectorImLb1EEEZNS1_14transform_implILb1ES3_S5_PmPlNS0_8identityIvEEEE10hipError_tT2_T3_mT4_P12ihipStream_tbEUlT_E_NS1_11comp_targetILNS1_3genE5ELNS1_11target_archE942ELNS1_3gpuE9ELNS1_3repE0EEENS1_30default_config_static_selectorELNS0_4arch9wavefront6targetE1EEEvT1_: ; @_ZN7rocprim17ROCPRIM_400000_NS6detail17trampoline_kernelINS0_14default_configENS1_25transform_config_selectorImLb1EEEZNS1_14transform_implILb1ES3_S5_PmPlNS0_8identityIvEEEE10hipError_tT2_T3_mT4_P12ihipStream_tbEUlT_E_NS1_11comp_targetILNS1_3genE5ELNS1_11target_archE942ELNS1_3gpuE9ELNS1_3repE0EEENS1_30default_config_static_selectorELNS0_4arch9wavefront6targetE1EEEvT1_
; %bb.0:
	.section	.rodata,"a",@progbits
	.p2align	6, 0x0
	.amdhsa_kernel _ZN7rocprim17ROCPRIM_400000_NS6detail17trampoline_kernelINS0_14default_configENS1_25transform_config_selectorImLb1EEEZNS1_14transform_implILb1ES3_S5_PmPlNS0_8identityIvEEEE10hipError_tT2_T3_mT4_P12ihipStream_tbEUlT_E_NS1_11comp_targetILNS1_3genE5ELNS1_11target_archE942ELNS1_3gpuE9ELNS1_3repE0EEENS1_30default_config_static_selectorELNS0_4arch9wavefront6targetE1EEEvT1_
		.amdhsa_group_segment_fixed_size 0
		.amdhsa_private_segment_fixed_size 0
		.amdhsa_kernarg_size 40
		.amdhsa_user_sgpr_count 6
		.amdhsa_user_sgpr_private_segment_buffer 1
		.amdhsa_user_sgpr_dispatch_ptr 0
		.amdhsa_user_sgpr_queue_ptr 0
		.amdhsa_user_sgpr_kernarg_segment_ptr 1
		.amdhsa_user_sgpr_dispatch_id 0
		.amdhsa_user_sgpr_flat_scratch_init 0
		.amdhsa_user_sgpr_kernarg_preload_length 0
		.amdhsa_user_sgpr_kernarg_preload_offset 0
		.amdhsa_user_sgpr_private_segment_size 0
		.amdhsa_uses_dynamic_stack 0
		.amdhsa_system_sgpr_private_segment_wavefront_offset 0
		.amdhsa_system_sgpr_workgroup_id_x 1
		.amdhsa_system_sgpr_workgroup_id_y 0
		.amdhsa_system_sgpr_workgroup_id_z 0
		.amdhsa_system_sgpr_workgroup_info 0
		.amdhsa_system_vgpr_workitem_id 0
		.amdhsa_next_free_vgpr 1
		.amdhsa_next_free_sgpr 0
		.amdhsa_accum_offset 4
		.amdhsa_reserve_vcc 0
		.amdhsa_reserve_flat_scratch 0
		.amdhsa_float_round_mode_32 0
		.amdhsa_float_round_mode_16_64 0
		.amdhsa_float_denorm_mode_32 3
		.amdhsa_float_denorm_mode_16_64 3
		.amdhsa_dx10_clamp 1
		.amdhsa_ieee_mode 1
		.amdhsa_fp16_overflow 0
		.amdhsa_tg_split 0
		.amdhsa_exception_fp_ieee_invalid_op 0
		.amdhsa_exception_fp_denorm_src 0
		.amdhsa_exception_fp_ieee_div_zero 0
		.amdhsa_exception_fp_ieee_overflow 0
		.amdhsa_exception_fp_ieee_underflow 0
		.amdhsa_exception_fp_ieee_inexact 0
		.amdhsa_exception_int_div_zero 0
	.end_amdhsa_kernel
	.section	.text._ZN7rocprim17ROCPRIM_400000_NS6detail17trampoline_kernelINS0_14default_configENS1_25transform_config_selectorImLb1EEEZNS1_14transform_implILb1ES3_S5_PmPlNS0_8identityIvEEEE10hipError_tT2_T3_mT4_P12ihipStream_tbEUlT_E_NS1_11comp_targetILNS1_3genE5ELNS1_11target_archE942ELNS1_3gpuE9ELNS1_3repE0EEENS1_30default_config_static_selectorELNS0_4arch9wavefront6targetE1EEEvT1_,"axG",@progbits,_ZN7rocprim17ROCPRIM_400000_NS6detail17trampoline_kernelINS0_14default_configENS1_25transform_config_selectorImLb1EEEZNS1_14transform_implILb1ES3_S5_PmPlNS0_8identityIvEEEE10hipError_tT2_T3_mT4_P12ihipStream_tbEUlT_E_NS1_11comp_targetILNS1_3genE5ELNS1_11target_archE942ELNS1_3gpuE9ELNS1_3repE0EEENS1_30default_config_static_selectorELNS0_4arch9wavefront6targetE1EEEvT1_,comdat
.Lfunc_end12:
	.size	_ZN7rocprim17ROCPRIM_400000_NS6detail17trampoline_kernelINS0_14default_configENS1_25transform_config_selectorImLb1EEEZNS1_14transform_implILb1ES3_S5_PmPlNS0_8identityIvEEEE10hipError_tT2_T3_mT4_P12ihipStream_tbEUlT_E_NS1_11comp_targetILNS1_3genE5ELNS1_11target_archE942ELNS1_3gpuE9ELNS1_3repE0EEENS1_30default_config_static_selectorELNS0_4arch9wavefront6targetE1EEEvT1_, .Lfunc_end12-_ZN7rocprim17ROCPRIM_400000_NS6detail17trampoline_kernelINS0_14default_configENS1_25transform_config_selectorImLb1EEEZNS1_14transform_implILb1ES3_S5_PmPlNS0_8identityIvEEEE10hipError_tT2_T3_mT4_P12ihipStream_tbEUlT_E_NS1_11comp_targetILNS1_3genE5ELNS1_11target_archE942ELNS1_3gpuE9ELNS1_3repE0EEENS1_30default_config_static_selectorELNS0_4arch9wavefront6targetE1EEEvT1_
                                        ; -- End function
	.section	.AMDGPU.csdata,"",@progbits
; Kernel info:
; codeLenInByte = 0
; NumSgprs: 4
; NumVgprs: 0
; NumAgprs: 0
; TotalNumVgprs: 0
; ScratchSize: 0
; MemoryBound: 0
; FloatMode: 240
; IeeeMode: 1
; LDSByteSize: 0 bytes/workgroup (compile time only)
; SGPRBlocks: 0
; VGPRBlocks: 0
; NumSGPRsForWavesPerEU: 4
; NumVGPRsForWavesPerEU: 1
; AccumOffset: 4
; Occupancy: 8
; WaveLimiterHint : 0
; COMPUTE_PGM_RSRC2:SCRATCH_EN: 0
; COMPUTE_PGM_RSRC2:USER_SGPR: 6
; COMPUTE_PGM_RSRC2:TRAP_HANDLER: 0
; COMPUTE_PGM_RSRC2:TGID_X_EN: 1
; COMPUTE_PGM_RSRC2:TGID_Y_EN: 0
; COMPUTE_PGM_RSRC2:TGID_Z_EN: 0
; COMPUTE_PGM_RSRC2:TIDIG_COMP_CNT: 0
; COMPUTE_PGM_RSRC3_GFX90A:ACCUM_OFFSET: 0
; COMPUTE_PGM_RSRC3_GFX90A:TG_SPLIT: 0
	.section	.text._ZN7rocprim17ROCPRIM_400000_NS6detail17trampoline_kernelINS0_14default_configENS1_25transform_config_selectorImLb1EEEZNS1_14transform_implILb1ES3_S5_PmPlNS0_8identityIvEEEE10hipError_tT2_T3_mT4_P12ihipStream_tbEUlT_E_NS1_11comp_targetILNS1_3genE4ELNS1_11target_archE910ELNS1_3gpuE8ELNS1_3repE0EEENS1_30default_config_static_selectorELNS0_4arch9wavefront6targetE1EEEvT1_,"axG",@progbits,_ZN7rocprim17ROCPRIM_400000_NS6detail17trampoline_kernelINS0_14default_configENS1_25transform_config_selectorImLb1EEEZNS1_14transform_implILb1ES3_S5_PmPlNS0_8identityIvEEEE10hipError_tT2_T3_mT4_P12ihipStream_tbEUlT_E_NS1_11comp_targetILNS1_3genE4ELNS1_11target_archE910ELNS1_3gpuE8ELNS1_3repE0EEENS1_30default_config_static_selectorELNS0_4arch9wavefront6targetE1EEEvT1_,comdat
	.protected	_ZN7rocprim17ROCPRIM_400000_NS6detail17trampoline_kernelINS0_14default_configENS1_25transform_config_selectorImLb1EEEZNS1_14transform_implILb1ES3_S5_PmPlNS0_8identityIvEEEE10hipError_tT2_T3_mT4_P12ihipStream_tbEUlT_E_NS1_11comp_targetILNS1_3genE4ELNS1_11target_archE910ELNS1_3gpuE8ELNS1_3repE0EEENS1_30default_config_static_selectorELNS0_4arch9wavefront6targetE1EEEvT1_ ; -- Begin function _ZN7rocprim17ROCPRIM_400000_NS6detail17trampoline_kernelINS0_14default_configENS1_25transform_config_selectorImLb1EEEZNS1_14transform_implILb1ES3_S5_PmPlNS0_8identityIvEEEE10hipError_tT2_T3_mT4_P12ihipStream_tbEUlT_E_NS1_11comp_targetILNS1_3genE4ELNS1_11target_archE910ELNS1_3gpuE8ELNS1_3repE0EEENS1_30default_config_static_selectorELNS0_4arch9wavefront6targetE1EEEvT1_
	.globl	_ZN7rocprim17ROCPRIM_400000_NS6detail17trampoline_kernelINS0_14default_configENS1_25transform_config_selectorImLb1EEEZNS1_14transform_implILb1ES3_S5_PmPlNS0_8identityIvEEEE10hipError_tT2_T3_mT4_P12ihipStream_tbEUlT_E_NS1_11comp_targetILNS1_3genE4ELNS1_11target_archE910ELNS1_3gpuE8ELNS1_3repE0EEENS1_30default_config_static_selectorELNS0_4arch9wavefront6targetE1EEEvT1_
	.p2align	8
	.type	_ZN7rocprim17ROCPRIM_400000_NS6detail17trampoline_kernelINS0_14default_configENS1_25transform_config_selectorImLb1EEEZNS1_14transform_implILb1ES3_S5_PmPlNS0_8identityIvEEEE10hipError_tT2_T3_mT4_P12ihipStream_tbEUlT_E_NS1_11comp_targetILNS1_3genE4ELNS1_11target_archE910ELNS1_3gpuE8ELNS1_3repE0EEENS1_30default_config_static_selectorELNS0_4arch9wavefront6targetE1EEEvT1_,@function
_ZN7rocprim17ROCPRIM_400000_NS6detail17trampoline_kernelINS0_14default_configENS1_25transform_config_selectorImLb1EEEZNS1_14transform_implILb1ES3_S5_PmPlNS0_8identityIvEEEE10hipError_tT2_T3_mT4_P12ihipStream_tbEUlT_E_NS1_11comp_targetILNS1_3genE4ELNS1_11target_archE910ELNS1_3gpuE8ELNS1_3repE0EEENS1_30default_config_static_selectorELNS0_4arch9wavefront6targetE1EEEvT1_: ; @_ZN7rocprim17ROCPRIM_400000_NS6detail17trampoline_kernelINS0_14default_configENS1_25transform_config_selectorImLb1EEEZNS1_14transform_implILb1ES3_S5_PmPlNS0_8identityIvEEEE10hipError_tT2_T3_mT4_P12ihipStream_tbEUlT_E_NS1_11comp_targetILNS1_3genE4ELNS1_11target_archE910ELNS1_3gpuE8ELNS1_3repE0EEENS1_30default_config_static_selectorELNS0_4arch9wavefront6targetE1EEEvT1_
; %bb.0:
	s_load_dwordx8 s[8:15], s[4:5], 0x0
	s_load_dword s2, s[4:5], 0x28
	s_waitcnt lgkmcnt(0)
	s_lshl_b64 s[0:1], s[10:11], 3
	s_add_u32 s4, s8, s0
	s_addc_u32 s5, s9, s1
	s_add_u32 s8, s14, s0
	s_addc_u32 s9, s15, s1
	s_lshl_b32 s0, s6, 11
	s_mov_b32 s1, 0
	s_add_i32 s7, s2, -1
	s_lshl_b64 s[2:3], s[0:1], 3
	s_add_u32 s4, s4, s2
	s_addc_u32 s5, s5, s3
	s_cmp_lg_u32 s6, s7
	s_mov_b64 s[6:7], -1
	s_cbranch_scc0 .LBB13_2
; %bb.1:
	v_lshlrev_b32_e32 v1, 4, v0
	global_load_dwordx4 v[2:5], v1, s[4:5]
	s_add_u32 s6, s8, s2
	s_addc_u32 s7, s9, s3
	s_waitcnt vmcnt(0)
	global_store_dwordx4 v1, v[2:5], s[6:7]
	s_mov_b64 s[6:7], 0
.LBB13_2:
	s_andn2_b64 vcc, exec, s[6:7]
	s_cbranch_vccnz .LBB13_11
; %bb.3:
	s_sub_i32 s6, s12, s0
	v_cmp_gt_u32_e32 vcc, s6, v0
	v_lshlrev_b32_e32 v1, 3, v0
                                        ; implicit-def: $vgpr2_vgpr3_vgpr4_vgpr5
	s_and_saveexec_b64 s[0:1], vcc
	s_cbranch_execz .LBB13_5
; %bb.4:
	global_load_dwordx2 v[2:3], v1, s[4:5]
.LBB13_5:
	s_or_b64 exec, exec, s[0:1]
	v_or_b32_e32 v0, 0x400, v0
	v_cmp_gt_u32_e64 s[0:1], s6, v0
	s_and_saveexec_b64 s[6:7], s[0:1]
	s_cbranch_execz .LBB13_7
; %bb.6:
	v_lshlrev_b32_e32 v0, 3, v0
	global_load_dwordx2 v[4:5], v0, s[4:5]
.LBB13_7:
	s_or_b64 exec, exec, s[6:7]
	s_add_u32 s2, s8, s2
	s_addc_u32 s3, s9, s3
	v_mov_b32_e32 v6, s3
	v_add_co_u32_e64 v0, s[2:3], s2, v1
	v_addc_co_u32_e64 v1, s[2:3], 0, v6, s[2:3]
	s_and_saveexec_b64 s[2:3], vcc
	s_cbranch_execz .LBB13_9
; %bb.8:
	s_waitcnt vmcnt(0)
	global_store_dwordx2 v[0:1], v[2:3], off
.LBB13_9:
	s_or_b64 exec, exec, s[2:3]
	s_and_saveexec_b64 s[2:3], s[0:1]
	s_cbranch_execz .LBB13_11
; %bb.10:
	v_add_co_u32_e32 v0, vcc, 0x2000, v0
	v_addc_co_u32_e32 v1, vcc, 0, v1, vcc
	s_waitcnt vmcnt(0)
	global_store_dwordx2 v[0:1], v[4:5], off
.LBB13_11:
	s_endpgm
	.section	.rodata,"a",@progbits
	.p2align	6, 0x0
	.amdhsa_kernel _ZN7rocprim17ROCPRIM_400000_NS6detail17trampoline_kernelINS0_14default_configENS1_25transform_config_selectorImLb1EEEZNS1_14transform_implILb1ES3_S5_PmPlNS0_8identityIvEEEE10hipError_tT2_T3_mT4_P12ihipStream_tbEUlT_E_NS1_11comp_targetILNS1_3genE4ELNS1_11target_archE910ELNS1_3gpuE8ELNS1_3repE0EEENS1_30default_config_static_selectorELNS0_4arch9wavefront6targetE1EEEvT1_
		.amdhsa_group_segment_fixed_size 0
		.amdhsa_private_segment_fixed_size 0
		.amdhsa_kernarg_size 296
		.amdhsa_user_sgpr_count 6
		.amdhsa_user_sgpr_private_segment_buffer 1
		.amdhsa_user_sgpr_dispatch_ptr 0
		.amdhsa_user_sgpr_queue_ptr 0
		.amdhsa_user_sgpr_kernarg_segment_ptr 1
		.amdhsa_user_sgpr_dispatch_id 0
		.amdhsa_user_sgpr_flat_scratch_init 0
		.amdhsa_user_sgpr_kernarg_preload_length 0
		.amdhsa_user_sgpr_kernarg_preload_offset 0
		.amdhsa_user_sgpr_private_segment_size 0
		.amdhsa_uses_dynamic_stack 0
		.amdhsa_system_sgpr_private_segment_wavefront_offset 0
		.amdhsa_system_sgpr_workgroup_id_x 1
		.amdhsa_system_sgpr_workgroup_id_y 0
		.amdhsa_system_sgpr_workgroup_id_z 0
		.amdhsa_system_sgpr_workgroup_info 0
		.amdhsa_system_vgpr_workitem_id 0
		.amdhsa_next_free_vgpr 7
		.amdhsa_next_free_sgpr 16
		.amdhsa_accum_offset 8
		.amdhsa_reserve_vcc 1
		.amdhsa_reserve_flat_scratch 0
		.amdhsa_float_round_mode_32 0
		.amdhsa_float_round_mode_16_64 0
		.amdhsa_float_denorm_mode_32 3
		.amdhsa_float_denorm_mode_16_64 3
		.amdhsa_dx10_clamp 1
		.amdhsa_ieee_mode 1
		.amdhsa_fp16_overflow 0
		.amdhsa_tg_split 0
		.amdhsa_exception_fp_ieee_invalid_op 0
		.amdhsa_exception_fp_denorm_src 0
		.amdhsa_exception_fp_ieee_div_zero 0
		.amdhsa_exception_fp_ieee_overflow 0
		.amdhsa_exception_fp_ieee_underflow 0
		.amdhsa_exception_fp_ieee_inexact 0
		.amdhsa_exception_int_div_zero 0
	.end_amdhsa_kernel
	.section	.text._ZN7rocprim17ROCPRIM_400000_NS6detail17trampoline_kernelINS0_14default_configENS1_25transform_config_selectorImLb1EEEZNS1_14transform_implILb1ES3_S5_PmPlNS0_8identityIvEEEE10hipError_tT2_T3_mT4_P12ihipStream_tbEUlT_E_NS1_11comp_targetILNS1_3genE4ELNS1_11target_archE910ELNS1_3gpuE8ELNS1_3repE0EEENS1_30default_config_static_selectorELNS0_4arch9wavefront6targetE1EEEvT1_,"axG",@progbits,_ZN7rocprim17ROCPRIM_400000_NS6detail17trampoline_kernelINS0_14default_configENS1_25transform_config_selectorImLb1EEEZNS1_14transform_implILb1ES3_S5_PmPlNS0_8identityIvEEEE10hipError_tT2_T3_mT4_P12ihipStream_tbEUlT_E_NS1_11comp_targetILNS1_3genE4ELNS1_11target_archE910ELNS1_3gpuE8ELNS1_3repE0EEENS1_30default_config_static_selectorELNS0_4arch9wavefront6targetE1EEEvT1_,comdat
.Lfunc_end13:
	.size	_ZN7rocprim17ROCPRIM_400000_NS6detail17trampoline_kernelINS0_14default_configENS1_25transform_config_selectorImLb1EEEZNS1_14transform_implILb1ES3_S5_PmPlNS0_8identityIvEEEE10hipError_tT2_T3_mT4_P12ihipStream_tbEUlT_E_NS1_11comp_targetILNS1_3genE4ELNS1_11target_archE910ELNS1_3gpuE8ELNS1_3repE0EEENS1_30default_config_static_selectorELNS0_4arch9wavefront6targetE1EEEvT1_, .Lfunc_end13-_ZN7rocprim17ROCPRIM_400000_NS6detail17trampoline_kernelINS0_14default_configENS1_25transform_config_selectorImLb1EEEZNS1_14transform_implILb1ES3_S5_PmPlNS0_8identityIvEEEE10hipError_tT2_T3_mT4_P12ihipStream_tbEUlT_E_NS1_11comp_targetILNS1_3genE4ELNS1_11target_archE910ELNS1_3gpuE8ELNS1_3repE0EEENS1_30default_config_static_selectorELNS0_4arch9wavefront6targetE1EEEvT1_
                                        ; -- End function
	.section	.AMDGPU.csdata,"",@progbits
; Kernel info:
; codeLenInByte = 280
; NumSgprs: 20
; NumVgprs: 7
; NumAgprs: 0
; TotalNumVgprs: 7
; ScratchSize: 0
; MemoryBound: 1
; FloatMode: 240
; IeeeMode: 1
; LDSByteSize: 0 bytes/workgroup (compile time only)
; SGPRBlocks: 2
; VGPRBlocks: 0
; NumSGPRsForWavesPerEU: 20
; NumVGPRsForWavesPerEU: 7
; AccumOffset: 8
; Occupancy: 8
; WaveLimiterHint : 0
; COMPUTE_PGM_RSRC2:SCRATCH_EN: 0
; COMPUTE_PGM_RSRC2:USER_SGPR: 6
; COMPUTE_PGM_RSRC2:TRAP_HANDLER: 0
; COMPUTE_PGM_RSRC2:TGID_X_EN: 1
; COMPUTE_PGM_RSRC2:TGID_Y_EN: 0
; COMPUTE_PGM_RSRC2:TGID_Z_EN: 0
; COMPUTE_PGM_RSRC2:TIDIG_COMP_CNT: 0
; COMPUTE_PGM_RSRC3_GFX90A:ACCUM_OFFSET: 1
; COMPUTE_PGM_RSRC3_GFX90A:TG_SPLIT: 0
	.section	.text._ZN7rocprim17ROCPRIM_400000_NS6detail17trampoline_kernelINS0_14default_configENS1_25transform_config_selectorImLb1EEEZNS1_14transform_implILb1ES3_S5_PmPlNS0_8identityIvEEEE10hipError_tT2_T3_mT4_P12ihipStream_tbEUlT_E_NS1_11comp_targetILNS1_3genE3ELNS1_11target_archE908ELNS1_3gpuE7ELNS1_3repE0EEENS1_30default_config_static_selectorELNS0_4arch9wavefront6targetE1EEEvT1_,"axG",@progbits,_ZN7rocprim17ROCPRIM_400000_NS6detail17trampoline_kernelINS0_14default_configENS1_25transform_config_selectorImLb1EEEZNS1_14transform_implILb1ES3_S5_PmPlNS0_8identityIvEEEE10hipError_tT2_T3_mT4_P12ihipStream_tbEUlT_E_NS1_11comp_targetILNS1_3genE3ELNS1_11target_archE908ELNS1_3gpuE7ELNS1_3repE0EEENS1_30default_config_static_selectorELNS0_4arch9wavefront6targetE1EEEvT1_,comdat
	.protected	_ZN7rocprim17ROCPRIM_400000_NS6detail17trampoline_kernelINS0_14default_configENS1_25transform_config_selectorImLb1EEEZNS1_14transform_implILb1ES3_S5_PmPlNS0_8identityIvEEEE10hipError_tT2_T3_mT4_P12ihipStream_tbEUlT_E_NS1_11comp_targetILNS1_3genE3ELNS1_11target_archE908ELNS1_3gpuE7ELNS1_3repE0EEENS1_30default_config_static_selectorELNS0_4arch9wavefront6targetE1EEEvT1_ ; -- Begin function _ZN7rocprim17ROCPRIM_400000_NS6detail17trampoline_kernelINS0_14default_configENS1_25transform_config_selectorImLb1EEEZNS1_14transform_implILb1ES3_S5_PmPlNS0_8identityIvEEEE10hipError_tT2_T3_mT4_P12ihipStream_tbEUlT_E_NS1_11comp_targetILNS1_3genE3ELNS1_11target_archE908ELNS1_3gpuE7ELNS1_3repE0EEENS1_30default_config_static_selectorELNS0_4arch9wavefront6targetE1EEEvT1_
	.globl	_ZN7rocprim17ROCPRIM_400000_NS6detail17trampoline_kernelINS0_14default_configENS1_25transform_config_selectorImLb1EEEZNS1_14transform_implILb1ES3_S5_PmPlNS0_8identityIvEEEE10hipError_tT2_T3_mT4_P12ihipStream_tbEUlT_E_NS1_11comp_targetILNS1_3genE3ELNS1_11target_archE908ELNS1_3gpuE7ELNS1_3repE0EEENS1_30default_config_static_selectorELNS0_4arch9wavefront6targetE1EEEvT1_
	.p2align	8
	.type	_ZN7rocprim17ROCPRIM_400000_NS6detail17trampoline_kernelINS0_14default_configENS1_25transform_config_selectorImLb1EEEZNS1_14transform_implILb1ES3_S5_PmPlNS0_8identityIvEEEE10hipError_tT2_T3_mT4_P12ihipStream_tbEUlT_E_NS1_11comp_targetILNS1_3genE3ELNS1_11target_archE908ELNS1_3gpuE7ELNS1_3repE0EEENS1_30default_config_static_selectorELNS0_4arch9wavefront6targetE1EEEvT1_,@function
_ZN7rocprim17ROCPRIM_400000_NS6detail17trampoline_kernelINS0_14default_configENS1_25transform_config_selectorImLb1EEEZNS1_14transform_implILb1ES3_S5_PmPlNS0_8identityIvEEEE10hipError_tT2_T3_mT4_P12ihipStream_tbEUlT_E_NS1_11comp_targetILNS1_3genE3ELNS1_11target_archE908ELNS1_3gpuE7ELNS1_3repE0EEENS1_30default_config_static_selectorELNS0_4arch9wavefront6targetE1EEEvT1_: ; @_ZN7rocprim17ROCPRIM_400000_NS6detail17trampoline_kernelINS0_14default_configENS1_25transform_config_selectorImLb1EEEZNS1_14transform_implILb1ES3_S5_PmPlNS0_8identityIvEEEE10hipError_tT2_T3_mT4_P12ihipStream_tbEUlT_E_NS1_11comp_targetILNS1_3genE3ELNS1_11target_archE908ELNS1_3gpuE7ELNS1_3repE0EEENS1_30default_config_static_selectorELNS0_4arch9wavefront6targetE1EEEvT1_
; %bb.0:
	.section	.rodata,"a",@progbits
	.p2align	6, 0x0
	.amdhsa_kernel _ZN7rocprim17ROCPRIM_400000_NS6detail17trampoline_kernelINS0_14default_configENS1_25transform_config_selectorImLb1EEEZNS1_14transform_implILb1ES3_S5_PmPlNS0_8identityIvEEEE10hipError_tT2_T3_mT4_P12ihipStream_tbEUlT_E_NS1_11comp_targetILNS1_3genE3ELNS1_11target_archE908ELNS1_3gpuE7ELNS1_3repE0EEENS1_30default_config_static_selectorELNS0_4arch9wavefront6targetE1EEEvT1_
		.amdhsa_group_segment_fixed_size 0
		.amdhsa_private_segment_fixed_size 0
		.amdhsa_kernarg_size 40
		.amdhsa_user_sgpr_count 6
		.amdhsa_user_sgpr_private_segment_buffer 1
		.amdhsa_user_sgpr_dispatch_ptr 0
		.amdhsa_user_sgpr_queue_ptr 0
		.amdhsa_user_sgpr_kernarg_segment_ptr 1
		.amdhsa_user_sgpr_dispatch_id 0
		.amdhsa_user_sgpr_flat_scratch_init 0
		.amdhsa_user_sgpr_kernarg_preload_length 0
		.amdhsa_user_sgpr_kernarg_preload_offset 0
		.amdhsa_user_sgpr_private_segment_size 0
		.amdhsa_uses_dynamic_stack 0
		.amdhsa_system_sgpr_private_segment_wavefront_offset 0
		.amdhsa_system_sgpr_workgroup_id_x 1
		.amdhsa_system_sgpr_workgroup_id_y 0
		.amdhsa_system_sgpr_workgroup_id_z 0
		.amdhsa_system_sgpr_workgroup_info 0
		.amdhsa_system_vgpr_workitem_id 0
		.amdhsa_next_free_vgpr 1
		.amdhsa_next_free_sgpr 0
		.amdhsa_accum_offset 4
		.amdhsa_reserve_vcc 0
		.amdhsa_reserve_flat_scratch 0
		.amdhsa_float_round_mode_32 0
		.amdhsa_float_round_mode_16_64 0
		.amdhsa_float_denorm_mode_32 3
		.amdhsa_float_denorm_mode_16_64 3
		.amdhsa_dx10_clamp 1
		.amdhsa_ieee_mode 1
		.amdhsa_fp16_overflow 0
		.amdhsa_tg_split 0
		.amdhsa_exception_fp_ieee_invalid_op 0
		.amdhsa_exception_fp_denorm_src 0
		.amdhsa_exception_fp_ieee_div_zero 0
		.amdhsa_exception_fp_ieee_overflow 0
		.amdhsa_exception_fp_ieee_underflow 0
		.amdhsa_exception_fp_ieee_inexact 0
		.amdhsa_exception_int_div_zero 0
	.end_amdhsa_kernel
	.section	.text._ZN7rocprim17ROCPRIM_400000_NS6detail17trampoline_kernelINS0_14default_configENS1_25transform_config_selectorImLb1EEEZNS1_14transform_implILb1ES3_S5_PmPlNS0_8identityIvEEEE10hipError_tT2_T3_mT4_P12ihipStream_tbEUlT_E_NS1_11comp_targetILNS1_3genE3ELNS1_11target_archE908ELNS1_3gpuE7ELNS1_3repE0EEENS1_30default_config_static_selectorELNS0_4arch9wavefront6targetE1EEEvT1_,"axG",@progbits,_ZN7rocprim17ROCPRIM_400000_NS6detail17trampoline_kernelINS0_14default_configENS1_25transform_config_selectorImLb1EEEZNS1_14transform_implILb1ES3_S5_PmPlNS0_8identityIvEEEE10hipError_tT2_T3_mT4_P12ihipStream_tbEUlT_E_NS1_11comp_targetILNS1_3genE3ELNS1_11target_archE908ELNS1_3gpuE7ELNS1_3repE0EEENS1_30default_config_static_selectorELNS0_4arch9wavefront6targetE1EEEvT1_,comdat
.Lfunc_end14:
	.size	_ZN7rocprim17ROCPRIM_400000_NS6detail17trampoline_kernelINS0_14default_configENS1_25transform_config_selectorImLb1EEEZNS1_14transform_implILb1ES3_S5_PmPlNS0_8identityIvEEEE10hipError_tT2_T3_mT4_P12ihipStream_tbEUlT_E_NS1_11comp_targetILNS1_3genE3ELNS1_11target_archE908ELNS1_3gpuE7ELNS1_3repE0EEENS1_30default_config_static_selectorELNS0_4arch9wavefront6targetE1EEEvT1_, .Lfunc_end14-_ZN7rocprim17ROCPRIM_400000_NS6detail17trampoline_kernelINS0_14default_configENS1_25transform_config_selectorImLb1EEEZNS1_14transform_implILb1ES3_S5_PmPlNS0_8identityIvEEEE10hipError_tT2_T3_mT4_P12ihipStream_tbEUlT_E_NS1_11comp_targetILNS1_3genE3ELNS1_11target_archE908ELNS1_3gpuE7ELNS1_3repE0EEENS1_30default_config_static_selectorELNS0_4arch9wavefront6targetE1EEEvT1_
                                        ; -- End function
	.section	.AMDGPU.csdata,"",@progbits
; Kernel info:
; codeLenInByte = 0
; NumSgprs: 4
; NumVgprs: 0
; NumAgprs: 0
; TotalNumVgprs: 0
; ScratchSize: 0
; MemoryBound: 0
; FloatMode: 240
; IeeeMode: 1
; LDSByteSize: 0 bytes/workgroup (compile time only)
; SGPRBlocks: 0
; VGPRBlocks: 0
; NumSGPRsForWavesPerEU: 4
; NumVGPRsForWavesPerEU: 1
; AccumOffset: 4
; Occupancy: 8
; WaveLimiterHint : 0
; COMPUTE_PGM_RSRC2:SCRATCH_EN: 0
; COMPUTE_PGM_RSRC2:USER_SGPR: 6
; COMPUTE_PGM_RSRC2:TRAP_HANDLER: 0
; COMPUTE_PGM_RSRC2:TGID_X_EN: 1
; COMPUTE_PGM_RSRC2:TGID_Y_EN: 0
; COMPUTE_PGM_RSRC2:TGID_Z_EN: 0
; COMPUTE_PGM_RSRC2:TIDIG_COMP_CNT: 0
; COMPUTE_PGM_RSRC3_GFX90A:ACCUM_OFFSET: 0
; COMPUTE_PGM_RSRC3_GFX90A:TG_SPLIT: 0
	.section	.text._ZN7rocprim17ROCPRIM_400000_NS6detail17trampoline_kernelINS0_14default_configENS1_25transform_config_selectorImLb1EEEZNS1_14transform_implILb1ES3_S5_PmPlNS0_8identityIvEEEE10hipError_tT2_T3_mT4_P12ihipStream_tbEUlT_E_NS1_11comp_targetILNS1_3genE2ELNS1_11target_archE906ELNS1_3gpuE6ELNS1_3repE0EEENS1_30default_config_static_selectorELNS0_4arch9wavefront6targetE1EEEvT1_,"axG",@progbits,_ZN7rocprim17ROCPRIM_400000_NS6detail17trampoline_kernelINS0_14default_configENS1_25transform_config_selectorImLb1EEEZNS1_14transform_implILb1ES3_S5_PmPlNS0_8identityIvEEEE10hipError_tT2_T3_mT4_P12ihipStream_tbEUlT_E_NS1_11comp_targetILNS1_3genE2ELNS1_11target_archE906ELNS1_3gpuE6ELNS1_3repE0EEENS1_30default_config_static_selectorELNS0_4arch9wavefront6targetE1EEEvT1_,comdat
	.protected	_ZN7rocprim17ROCPRIM_400000_NS6detail17trampoline_kernelINS0_14default_configENS1_25transform_config_selectorImLb1EEEZNS1_14transform_implILb1ES3_S5_PmPlNS0_8identityIvEEEE10hipError_tT2_T3_mT4_P12ihipStream_tbEUlT_E_NS1_11comp_targetILNS1_3genE2ELNS1_11target_archE906ELNS1_3gpuE6ELNS1_3repE0EEENS1_30default_config_static_selectorELNS0_4arch9wavefront6targetE1EEEvT1_ ; -- Begin function _ZN7rocprim17ROCPRIM_400000_NS6detail17trampoline_kernelINS0_14default_configENS1_25transform_config_selectorImLb1EEEZNS1_14transform_implILb1ES3_S5_PmPlNS0_8identityIvEEEE10hipError_tT2_T3_mT4_P12ihipStream_tbEUlT_E_NS1_11comp_targetILNS1_3genE2ELNS1_11target_archE906ELNS1_3gpuE6ELNS1_3repE0EEENS1_30default_config_static_selectorELNS0_4arch9wavefront6targetE1EEEvT1_
	.globl	_ZN7rocprim17ROCPRIM_400000_NS6detail17trampoline_kernelINS0_14default_configENS1_25transform_config_selectorImLb1EEEZNS1_14transform_implILb1ES3_S5_PmPlNS0_8identityIvEEEE10hipError_tT2_T3_mT4_P12ihipStream_tbEUlT_E_NS1_11comp_targetILNS1_3genE2ELNS1_11target_archE906ELNS1_3gpuE6ELNS1_3repE0EEENS1_30default_config_static_selectorELNS0_4arch9wavefront6targetE1EEEvT1_
	.p2align	8
	.type	_ZN7rocprim17ROCPRIM_400000_NS6detail17trampoline_kernelINS0_14default_configENS1_25transform_config_selectorImLb1EEEZNS1_14transform_implILb1ES3_S5_PmPlNS0_8identityIvEEEE10hipError_tT2_T3_mT4_P12ihipStream_tbEUlT_E_NS1_11comp_targetILNS1_3genE2ELNS1_11target_archE906ELNS1_3gpuE6ELNS1_3repE0EEENS1_30default_config_static_selectorELNS0_4arch9wavefront6targetE1EEEvT1_,@function
_ZN7rocprim17ROCPRIM_400000_NS6detail17trampoline_kernelINS0_14default_configENS1_25transform_config_selectorImLb1EEEZNS1_14transform_implILb1ES3_S5_PmPlNS0_8identityIvEEEE10hipError_tT2_T3_mT4_P12ihipStream_tbEUlT_E_NS1_11comp_targetILNS1_3genE2ELNS1_11target_archE906ELNS1_3gpuE6ELNS1_3repE0EEENS1_30default_config_static_selectorELNS0_4arch9wavefront6targetE1EEEvT1_: ; @_ZN7rocprim17ROCPRIM_400000_NS6detail17trampoline_kernelINS0_14default_configENS1_25transform_config_selectorImLb1EEEZNS1_14transform_implILb1ES3_S5_PmPlNS0_8identityIvEEEE10hipError_tT2_T3_mT4_P12ihipStream_tbEUlT_E_NS1_11comp_targetILNS1_3genE2ELNS1_11target_archE906ELNS1_3gpuE6ELNS1_3repE0EEENS1_30default_config_static_selectorELNS0_4arch9wavefront6targetE1EEEvT1_
; %bb.0:
	.section	.rodata,"a",@progbits
	.p2align	6, 0x0
	.amdhsa_kernel _ZN7rocprim17ROCPRIM_400000_NS6detail17trampoline_kernelINS0_14default_configENS1_25transform_config_selectorImLb1EEEZNS1_14transform_implILb1ES3_S5_PmPlNS0_8identityIvEEEE10hipError_tT2_T3_mT4_P12ihipStream_tbEUlT_E_NS1_11comp_targetILNS1_3genE2ELNS1_11target_archE906ELNS1_3gpuE6ELNS1_3repE0EEENS1_30default_config_static_selectorELNS0_4arch9wavefront6targetE1EEEvT1_
		.amdhsa_group_segment_fixed_size 0
		.amdhsa_private_segment_fixed_size 0
		.amdhsa_kernarg_size 40
		.amdhsa_user_sgpr_count 6
		.amdhsa_user_sgpr_private_segment_buffer 1
		.amdhsa_user_sgpr_dispatch_ptr 0
		.amdhsa_user_sgpr_queue_ptr 0
		.amdhsa_user_sgpr_kernarg_segment_ptr 1
		.amdhsa_user_sgpr_dispatch_id 0
		.amdhsa_user_sgpr_flat_scratch_init 0
		.amdhsa_user_sgpr_kernarg_preload_length 0
		.amdhsa_user_sgpr_kernarg_preload_offset 0
		.amdhsa_user_sgpr_private_segment_size 0
		.amdhsa_uses_dynamic_stack 0
		.amdhsa_system_sgpr_private_segment_wavefront_offset 0
		.amdhsa_system_sgpr_workgroup_id_x 1
		.amdhsa_system_sgpr_workgroup_id_y 0
		.amdhsa_system_sgpr_workgroup_id_z 0
		.amdhsa_system_sgpr_workgroup_info 0
		.amdhsa_system_vgpr_workitem_id 0
		.amdhsa_next_free_vgpr 1
		.amdhsa_next_free_sgpr 0
		.amdhsa_accum_offset 4
		.amdhsa_reserve_vcc 0
		.amdhsa_reserve_flat_scratch 0
		.amdhsa_float_round_mode_32 0
		.amdhsa_float_round_mode_16_64 0
		.amdhsa_float_denorm_mode_32 3
		.amdhsa_float_denorm_mode_16_64 3
		.amdhsa_dx10_clamp 1
		.amdhsa_ieee_mode 1
		.amdhsa_fp16_overflow 0
		.amdhsa_tg_split 0
		.amdhsa_exception_fp_ieee_invalid_op 0
		.amdhsa_exception_fp_denorm_src 0
		.amdhsa_exception_fp_ieee_div_zero 0
		.amdhsa_exception_fp_ieee_overflow 0
		.amdhsa_exception_fp_ieee_underflow 0
		.amdhsa_exception_fp_ieee_inexact 0
		.amdhsa_exception_int_div_zero 0
	.end_amdhsa_kernel
	.section	.text._ZN7rocprim17ROCPRIM_400000_NS6detail17trampoline_kernelINS0_14default_configENS1_25transform_config_selectorImLb1EEEZNS1_14transform_implILb1ES3_S5_PmPlNS0_8identityIvEEEE10hipError_tT2_T3_mT4_P12ihipStream_tbEUlT_E_NS1_11comp_targetILNS1_3genE2ELNS1_11target_archE906ELNS1_3gpuE6ELNS1_3repE0EEENS1_30default_config_static_selectorELNS0_4arch9wavefront6targetE1EEEvT1_,"axG",@progbits,_ZN7rocprim17ROCPRIM_400000_NS6detail17trampoline_kernelINS0_14default_configENS1_25transform_config_selectorImLb1EEEZNS1_14transform_implILb1ES3_S5_PmPlNS0_8identityIvEEEE10hipError_tT2_T3_mT4_P12ihipStream_tbEUlT_E_NS1_11comp_targetILNS1_3genE2ELNS1_11target_archE906ELNS1_3gpuE6ELNS1_3repE0EEENS1_30default_config_static_selectorELNS0_4arch9wavefront6targetE1EEEvT1_,comdat
.Lfunc_end15:
	.size	_ZN7rocprim17ROCPRIM_400000_NS6detail17trampoline_kernelINS0_14default_configENS1_25transform_config_selectorImLb1EEEZNS1_14transform_implILb1ES3_S5_PmPlNS0_8identityIvEEEE10hipError_tT2_T3_mT4_P12ihipStream_tbEUlT_E_NS1_11comp_targetILNS1_3genE2ELNS1_11target_archE906ELNS1_3gpuE6ELNS1_3repE0EEENS1_30default_config_static_selectorELNS0_4arch9wavefront6targetE1EEEvT1_, .Lfunc_end15-_ZN7rocprim17ROCPRIM_400000_NS6detail17trampoline_kernelINS0_14default_configENS1_25transform_config_selectorImLb1EEEZNS1_14transform_implILb1ES3_S5_PmPlNS0_8identityIvEEEE10hipError_tT2_T3_mT4_P12ihipStream_tbEUlT_E_NS1_11comp_targetILNS1_3genE2ELNS1_11target_archE906ELNS1_3gpuE6ELNS1_3repE0EEENS1_30default_config_static_selectorELNS0_4arch9wavefront6targetE1EEEvT1_
                                        ; -- End function
	.section	.AMDGPU.csdata,"",@progbits
; Kernel info:
; codeLenInByte = 0
; NumSgprs: 4
; NumVgprs: 0
; NumAgprs: 0
; TotalNumVgprs: 0
; ScratchSize: 0
; MemoryBound: 0
; FloatMode: 240
; IeeeMode: 1
; LDSByteSize: 0 bytes/workgroup (compile time only)
; SGPRBlocks: 0
; VGPRBlocks: 0
; NumSGPRsForWavesPerEU: 4
; NumVGPRsForWavesPerEU: 1
; AccumOffset: 4
; Occupancy: 8
; WaveLimiterHint : 0
; COMPUTE_PGM_RSRC2:SCRATCH_EN: 0
; COMPUTE_PGM_RSRC2:USER_SGPR: 6
; COMPUTE_PGM_RSRC2:TRAP_HANDLER: 0
; COMPUTE_PGM_RSRC2:TGID_X_EN: 1
; COMPUTE_PGM_RSRC2:TGID_Y_EN: 0
; COMPUTE_PGM_RSRC2:TGID_Z_EN: 0
; COMPUTE_PGM_RSRC2:TIDIG_COMP_CNT: 0
; COMPUTE_PGM_RSRC3_GFX90A:ACCUM_OFFSET: 0
; COMPUTE_PGM_RSRC3_GFX90A:TG_SPLIT: 0
	.section	.text._ZN7rocprim17ROCPRIM_400000_NS6detail17trampoline_kernelINS0_14default_configENS1_25transform_config_selectorImLb1EEEZNS1_14transform_implILb1ES3_S5_PmPlNS0_8identityIvEEEE10hipError_tT2_T3_mT4_P12ihipStream_tbEUlT_E_NS1_11comp_targetILNS1_3genE9ELNS1_11target_archE1100ELNS1_3gpuE3ELNS1_3repE0EEENS1_30default_config_static_selectorELNS0_4arch9wavefront6targetE1EEEvT1_,"axG",@progbits,_ZN7rocprim17ROCPRIM_400000_NS6detail17trampoline_kernelINS0_14default_configENS1_25transform_config_selectorImLb1EEEZNS1_14transform_implILb1ES3_S5_PmPlNS0_8identityIvEEEE10hipError_tT2_T3_mT4_P12ihipStream_tbEUlT_E_NS1_11comp_targetILNS1_3genE9ELNS1_11target_archE1100ELNS1_3gpuE3ELNS1_3repE0EEENS1_30default_config_static_selectorELNS0_4arch9wavefront6targetE1EEEvT1_,comdat
	.protected	_ZN7rocprim17ROCPRIM_400000_NS6detail17trampoline_kernelINS0_14default_configENS1_25transform_config_selectorImLb1EEEZNS1_14transform_implILb1ES3_S5_PmPlNS0_8identityIvEEEE10hipError_tT2_T3_mT4_P12ihipStream_tbEUlT_E_NS1_11comp_targetILNS1_3genE9ELNS1_11target_archE1100ELNS1_3gpuE3ELNS1_3repE0EEENS1_30default_config_static_selectorELNS0_4arch9wavefront6targetE1EEEvT1_ ; -- Begin function _ZN7rocprim17ROCPRIM_400000_NS6detail17trampoline_kernelINS0_14default_configENS1_25transform_config_selectorImLb1EEEZNS1_14transform_implILb1ES3_S5_PmPlNS0_8identityIvEEEE10hipError_tT2_T3_mT4_P12ihipStream_tbEUlT_E_NS1_11comp_targetILNS1_3genE9ELNS1_11target_archE1100ELNS1_3gpuE3ELNS1_3repE0EEENS1_30default_config_static_selectorELNS0_4arch9wavefront6targetE1EEEvT1_
	.globl	_ZN7rocprim17ROCPRIM_400000_NS6detail17trampoline_kernelINS0_14default_configENS1_25transform_config_selectorImLb1EEEZNS1_14transform_implILb1ES3_S5_PmPlNS0_8identityIvEEEE10hipError_tT2_T3_mT4_P12ihipStream_tbEUlT_E_NS1_11comp_targetILNS1_3genE9ELNS1_11target_archE1100ELNS1_3gpuE3ELNS1_3repE0EEENS1_30default_config_static_selectorELNS0_4arch9wavefront6targetE1EEEvT1_
	.p2align	8
	.type	_ZN7rocprim17ROCPRIM_400000_NS6detail17trampoline_kernelINS0_14default_configENS1_25transform_config_selectorImLb1EEEZNS1_14transform_implILb1ES3_S5_PmPlNS0_8identityIvEEEE10hipError_tT2_T3_mT4_P12ihipStream_tbEUlT_E_NS1_11comp_targetILNS1_3genE9ELNS1_11target_archE1100ELNS1_3gpuE3ELNS1_3repE0EEENS1_30default_config_static_selectorELNS0_4arch9wavefront6targetE1EEEvT1_,@function
_ZN7rocprim17ROCPRIM_400000_NS6detail17trampoline_kernelINS0_14default_configENS1_25transform_config_selectorImLb1EEEZNS1_14transform_implILb1ES3_S5_PmPlNS0_8identityIvEEEE10hipError_tT2_T3_mT4_P12ihipStream_tbEUlT_E_NS1_11comp_targetILNS1_3genE9ELNS1_11target_archE1100ELNS1_3gpuE3ELNS1_3repE0EEENS1_30default_config_static_selectorELNS0_4arch9wavefront6targetE1EEEvT1_: ; @_ZN7rocprim17ROCPRIM_400000_NS6detail17trampoline_kernelINS0_14default_configENS1_25transform_config_selectorImLb1EEEZNS1_14transform_implILb1ES3_S5_PmPlNS0_8identityIvEEEE10hipError_tT2_T3_mT4_P12ihipStream_tbEUlT_E_NS1_11comp_targetILNS1_3genE9ELNS1_11target_archE1100ELNS1_3gpuE3ELNS1_3repE0EEENS1_30default_config_static_selectorELNS0_4arch9wavefront6targetE1EEEvT1_
; %bb.0:
	.section	.rodata,"a",@progbits
	.p2align	6, 0x0
	.amdhsa_kernel _ZN7rocprim17ROCPRIM_400000_NS6detail17trampoline_kernelINS0_14default_configENS1_25transform_config_selectorImLb1EEEZNS1_14transform_implILb1ES3_S5_PmPlNS0_8identityIvEEEE10hipError_tT2_T3_mT4_P12ihipStream_tbEUlT_E_NS1_11comp_targetILNS1_3genE9ELNS1_11target_archE1100ELNS1_3gpuE3ELNS1_3repE0EEENS1_30default_config_static_selectorELNS0_4arch9wavefront6targetE1EEEvT1_
		.amdhsa_group_segment_fixed_size 0
		.amdhsa_private_segment_fixed_size 0
		.amdhsa_kernarg_size 40
		.amdhsa_user_sgpr_count 6
		.amdhsa_user_sgpr_private_segment_buffer 1
		.amdhsa_user_sgpr_dispatch_ptr 0
		.amdhsa_user_sgpr_queue_ptr 0
		.amdhsa_user_sgpr_kernarg_segment_ptr 1
		.amdhsa_user_sgpr_dispatch_id 0
		.amdhsa_user_sgpr_flat_scratch_init 0
		.amdhsa_user_sgpr_kernarg_preload_length 0
		.amdhsa_user_sgpr_kernarg_preload_offset 0
		.amdhsa_user_sgpr_private_segment_size 0
		.amdhsa_uses_dynamic_stack 0
		.amdhsa_system_sgpr_private_segment_wavefront_offset 0
		.amdhsa_system_sgpr_workgroup_id_x 1
		.amdhsa_system_sgpr_workgroup_id_y 0
		.amdhsa_system_sgpr_workgroup_id_z 0
		.amdhsa_system_sgpr_workgroup_info 0
		.amdhsa_system_vgpr_workitem_id 0
		.amdhsa_next_free_vgpr 1
		.amdhsa_next_free_sgpr 0
		.amdhsa_accum_offset 4
		.amdhsa_reserve_vcc 0
		.amdhsa_reserve_flat_scratch 0
		.amdhsa_float_round_mode_32 0
		.amdhsa_float_round_mode_16_64 0
		.amdhsa_float_denorm_mode_32 3
		.amdhsa_float_denorm_mode_16_64 3
		.amdhsa_dx10_clamp 1
		.amdhsa_ieee_mode 1
		.amdhsa_fp16_overflow 0
		.amdhsa_tg_split 0
		.amdhsa_exception_fp_ieee_invalid_op 0
		.amdhsa_exception_fp_denorm_src 0
		.amdhsa_exception_fp_ieee_div_zero 0
		.amdhsa_exception_fp_ieee_overflow 0
		.amdhsa_exception_fp_ieee_underflow 0
		.amdhsa_exception_fp_ieee_inexact 0
		.amdhsa_exception_int_div_zero 0
	.end_amdhsa_kernel
	.section	.text._ZN7rocprim17ROCPRIM_400000_NS6detail17trampoline_kernelINS0_14default_configENS1_25transform_config_selectorImLb1EEEZNS1_14transform_implILb1ES3_S5_PmPlNS0_8identityIvEEEE10hipError_tT2_T3_mT4_P12ihipStream_tbEUlT_E_NS1_11comp_targetILNS1_3genE9ELNS1_11target_archE1100ELNS1_3gpuE3ELNS1_3repE0EEENS1_30default_config_static_selectorELNS0_4arch9wavefront6targetE1EEEvT1_,"axG",@progbits,_ZN7rocprim17ROCPRIM_400000_NS6detail17trampoline_kernelINS0_14default_configENS1_25transform_config_selectorImLb1EEEZNS1_14transform_implILb1ES3_S5_PmPlNS0_8identityIvEEEE10hipError_tT2_T3_mT4_P12ihipStream_tbEUlT_E_NS1_11comp_targetILNS1_3genE9ELNS1_11target_archE1100ELNS1_3gpuE3ELNS1_3repE0EEENS1_30default_config_static_selectorELNS0_4arch9wavefront6targetE1EEEvT1_,comdat
.Lfunc_end16:
	.size	_ZN7rocprim17ROCPRIM_400000_NS6detail17trampoline_kernelINS0_14default_configENS1_25transform_config_selectorImLb1EEEZNS1_14transform_implILb1ES3_S5_PmPlNS0_8identityIvEEEE10hipError_tT2_T3_mT4_P12ihipStream_tbEUlT_E_NS1_11comp_targetILNS1_3genE9ELNS1_11target_archE1100ELNS1_3gpuE3ELNS1_3repE0EEENS1_30default_config_static_selectorELNS0_4arch9wavefront6targetE1EEEvT1_, .Lfunc_end16-_ZN7rocprim17ROCPRIM_400000_NS6detail17trampoline_kernelINS0_14default_configENS1_25transform_config_selectorImLb1EEEZNS1_14transform_implILb1ES3_S5_PmPlNS0_8identityIvEEEE10hipError_tT2_T3_mT4_P12ihipStream_tbEUlT_E_NS1_11comp_targetILNS1_3genE9ELNS1_11target_archE1100ELNS1_3gpuE3ELNS1_3repE0EEENS1_30default_config_static_selectorELNS0_4arch9wavefront6targetE1EEEvT1_
                                        ; -- End function
	.section	.AMDGPU.csdata,"",@progbits
; Kernel info:
; codeLenInByte = 0
; NumSgprs: 4
; NumVgprs: 0
; NumAgprs: 0
; TotalNumVgprs: 0
; ScratchSize: 0
; MemoryBound: 0
; FloatMode: 240
; IeeeMode: 1
; LDSByteSize: 0 bytes/workgroup (compile time only)
; SGPRBlocks: 0
; VGPRBlocks: 0
; NumSGPRsForWavesPerEU: 4
; NumVGPRsForWavesPerEU: 1
; AccumOffset: 4
; Occupancy: 8
; WaveLimiterHint : 0
; COMPUTE_PGM_RSRC2:SCRATCH_EN: 0
; COMPUTE_PGM_RSRC2:USER_SGPR: 6
; COMPUTE_PGM_RSRC2:TRAP_HANDLER: 0
; COMPUTE_PGM_RSRC2:TGID_X_EN: 1
; COMPUTE_PGM_RSRC2:TGID_Y_EN: 0
; COMPUTE_PGM_RSRC2:TGID_Z_EN: 0
; COMPUTE_PGM_RSRC2:TIDIG_COMP_CNT: 0
; COMPUTE_PGM_RSRC3_GFX90A:ACCUM_OFFSET: 0
; COMPUTE_PGM_RSRC3_GFX90A:TG_SPLIT: 0
	.section	.text._ZN7rocprim17ROCPRIM_400000_NS6detail17trampoline_kernelINS0_14default_configENS1_25transform_config_selectorImLb1EEEZNS1_14transform_implILb1ES3_S5_PmPlNS0_8identityIvEEEE10hipError_tT2_T3_mT4_P12ihipStream_tbEUlT_E_NS1_11comp_targetILNS1_3genE8ELNS1_11target_archE1030ELNS1_3gpuE2ELNS1_3repE0EEENS1_30default_config_static_selectorELNS0_4arch9wavefront6targetE1EEEvT1_,"axG",@progbits,_ZN7rocprim17ROCPRIM_400000_NS6detail17trampoline_kernelINS0_14default_configENS1_25transform_config_selectorImLb1EEEZNS1_14transform_implILb1ES3_S5_PmPlNS0_8identityIvEEEE10hipError_tT2_T3_mT4_P12ihipStream_tbEUlT_E_NS1_11comp_targetILNS1_3genE8ELNS1_11target_archE1030ELNS1_3gpuE2ELNS1_3repE0EEENS1_30default_config_static_selectorELNS0_4arch9wavefront6targetE1EEEvT1_,comdat
	.protected	_ZN7rocprim17ROCPRIM_400000_NS6detail17trampoline_kernelINS0_14default_configENS1_25transform_config_selectorImLb1EEEZNS1_14transform_implILb1ES3_S5_PmPlNS0_8identityIvEEEE10hipError_tT2_T3_mT4_P12ihipStream_tbEUlT_E_NS1_11comp_targetILNS1_3genE8ELNS1_11target_archE1030ELNS1_3gpuE2ELNS1_3repE0EEENS1_30default_config_static_selectorELNS0_4arch9wavefront6targetE1EEEvT1_ ; -- Begin function _ZN7rocprim17ROCPRIM_400000_NS6detail17trampoline_kernelINS0_14default_configENS1_25transform_config_selectorImLb1EEEZNS1_14transform_implILb1ES3_S5_PmPlNS0_8identityIvEEEE10hipError_tT2_T3_mT4_P12ihipStream_tbEUlT_E_NS1_11comp_targetILNS1_3genE8ELNS1_11target_archE1030ELNS1_3gpuE2ELNS1_3repE0EEENS1_30default_config_static_selectorELNS0_4arch9wavefront6targetE1EEEvT1_
	.globl	_ZN7rocprim17ROCPRIM_400000_NS6detail17trampoline_kernelINS0_14default_configENS1_25transform_config_selectorImLb1EEEZNS1_14transform_implILb1ES3_S5_PmPlNS0_8identityIvEEEE10hipError_tT2_T3_mT4_P12ihipStream_tbEUlT_E_NS1_11comp_targetILNS1_3genE8ELNS1_11target_archE1030ELNS1_3gpuE2ELNS1_3repE0EEENS1_30default_config_static_selectorELNS0_4arch9wavefront6targetE1EEEvT1_
	.p2align	8
	.type	_ZN7rocprim17ROCPRIM_400000_NS6detail17trampoline_kernelINS0_14default_configENS1_25transform_config_selectorImLb1EEEZNS1_14transform_implILb1ES3_S5_PmPlNS0_8identityIvEEEE10hipError_tT2_T3_mT4_P12ihipStream_tbEUlT_E_NS1_11comp_targetILNS1_3genE8ELNS1_11target_archE1030ELNS1_3gpuE2ELNS1_3repE0EEENS1_30default_config_static_selectorELNS0_4arch9wavefront6targetE1EEEvT1_,@function
_ZN7rocprim17ROCPRIM_400000_NS6detail17trampoline_kernelINS0_14default_configENS1_25transform_config_selectorImLb1EEEZNS1_14transform_implILb1ES3_S5_PmPlNS0_8identityIvEEEE10hipError_tT2_T3_mT4_P12ihipStream_tbEUlT_E_NS1_11comp_targetILNS1_3genE8ELNS1_11target_archE1030ELNS1_3gpuE2ELNS1_3repE0EEENS1_30default_config_static_selectorELNS0_4arch9wavefront6targetE1EEEvT1_: ; @_ZN7rocprim17ROCPRIM_400000_NS6detail17trampoline_kernelINS0_14default_configENS1_25transform_config_selectorImLb1EEEZNS1_14transform_implILb1ES3_S5_PmPlNS0_8identityIvEEEE10hipError_tT2_T3_mT4_P12ihipStream_tbEUlT_E_NS1_11comp_targetILNS1_3genE8ELNS1_11target_archE1030ELNS1_3gpuE2ELNS1_3repE0EEENS1_30default_config_static_selectorELNS0_4arch9wavefront6targetE1EEEvT1_
; %bb.0:
	.section	.rodata,"a",@progbits
	.p2align	6, 0x0
	.amdhsa_kernel _ZN7rocprim17ROCPRIM_400000_NS6detail17trampoline_kernelINS0_14default_configENS1_25transform_config_selectorImLb1EEEZNS1_14transform_implILb1ES3_S5_PmPlNS0_8identityIvEEEE10hipError_tT2_T3_mT4_P12ihipStream_tbEUlT_E_NS1_11comp_targetILNS1_3genE8ELNS1_11target_archE1030ELNS1_3gpuE2ELNS1_3repE0EEENS1_30default_config_static_selectorELNS0_4arch9wavefront6targetE1EEEvT1_
		.amdhsa_group_segment_fixed_size 0
		.amdhsa_private_segment_fixed_size 0
		.amdhsa_kernarg_size 40
		.amdhsa_user_sgpr_count 6
		.amdhsa_user_sgpr_private_segment_buffer 1
		.amdhsa_user_sgpr_dispatch_ptr 0
		.amdhsa_user_sgpr_queue_ptr 0
		.amdhsa_user_sgpr_kernarg_segment_ptr 1
		.amdhsa_user_sgpr_dispatch_id 0
		.amdhsa_user_sgpr_flat_scratch_init 0
		.amdhsa_user_sgpr_kernarg_preload_length 0
		.amdhsa_user_sgpr_kernarg_preload_offset 0
		.amdhsa_user_sgpr_private_segment_size 0
		.amdhsa_uses_dynamic_stack 0
		.amdhsa_system_sgpr_private_segment_wavefront_offset 0
		.amdhsa_system_sgpr_workgroup_id_x 1
		.amdhsa_system_sgpr_workgroup_id_y 0
		.amdhsa_system_sgpr_workgroup_id_z 0
		.amdhsa_system_sgpr_workgroup_info 0
		.amdhsa_system_vgpr_workitem_id 0
		.amdhsa_next_free_vgpr 1
		.amdhsa_next_free_sgpr 0
		.amdhsa_accum_offset 4
		.amdhsa_reserve_vcc 0
		.amdhsa_reserve_flat_scratch 0
		.amdhsa_float_round_mode_32 0
		.amdhsa_float_round_mode_16_64 0
		.amdhsa_float_denorm_mode_32 3
		.amdhsa_float_denorm_mode_16_64 3
		.amdhsa_dx10_clamp 1
		.amdhsa_ieee_mode 1
		.amdhsa_fp16_overflow 0
		.amdhsa_tg_split 0
		.amdhsa_exception_fp_ieee_invalid_op 0
		.amdhsa_exception_fp_denorm_src 0
		.amdhsa_exception_fp_ieee_div_zero 0
		.amdhsa_exception_fp_ieee_overflow 0
		.amdhsa_exception_fp_ieee_underflow 0
		.amdhsa_exception_fp_ieee_inexact 0
		.amdhsa_exception_int_div_zero 0
	.end_amdhsa_kernel
	.section	.text._ZN7rocprim17ROCPRIM_400000_NS6detail17trampoline_kernelINS0_14default_configENS1_25transform_config_selectorImLb1EEEZNS1_14transform_implILb1ES3_S5_PmPlNS0_8identityIvEEEE10hipError_tT2_T3_mT4_P12ihipStream_tbEUlT_E_NS1_11comp_targetILNS1_3genE8ELNS1_11target_archE1030ELNS1_3gpuE2ELNS1_3repE0EEENS1_30default_config_static_selectorELNS0_4arch9wavefront6targetE1EEEvT1_,"axG",@progbits,_ZN7rocprim17ROCPRIM_400000_NS6detail17trampoline_kernelINS0_14default_configENS1_25transform_config_selectorImLb1EEEZNS1_14transform_implILb1ES3_S5_PmPlNS0_8identityIvEEEE10hipError_tT2_T3_mT4_P12ihipStream_tbEUlT_E_NS1_11comp_targetILNS1_3genE8ELNS1_11target_archE1030ELNS1_3gpuE2ELNS1_3repE0EEENS1_30default_config_static_selectorELNS0_4arch9wavefront6targetE1EEEvT1_,comdat
.Lfunc_end17:
	.size	_ZN7rocprim17ROCPRIM_400000_NS6detail17trampoline_kernelINS0_14default_configENS1_25transform_config_selectorImLb1EEEZNS1_14transform_implILb1ES3_S5_PmPlNS0_8identityIvEEEE10hipError_tT2_T3_mT4_P12ihipStream_tbEUlT_E_NS1_11comp_targetILNS1_3genE8ELNS1_11target_archE1030ELNS1_3gpuE2ELNS1_3repE0EEENS1_30default_config_static_selectorELNS0_4arch9wavefront6targetE1EEEvT1_, .Lfunc_end17-_ZN7rocprim17ROCPRIM_400000_NS6detail17trampoline_kernelINS0_14default_configENS1_25transform_config_selectorImLb1EEEZNS1_14transform_implILb1ES3_S5_PmPlNS0_8identityIvEEEE10hipError_tT2_T3_mT4_P12ihipStream_tbEUlT_E_NS1_11comp_targetILNS1_3genE8ELNS1_11target_archE1030ELNS1_3gpuE2ELNS1_3repE0EEENS1_30default_config_static_selectorELNS0_4arch9wavefront6targetE1EEEvT1_
                                        ; -- End function
	.section	.AMDGPU.csdata,"",@progbits
; Kernel info:
; codeLenInByte = 0
; NumSgprs: 4
; NumVgprs: 0
; NumAgprs: 0
; TotalNumVgprs: 0
; ScratchSize: 0
; MemoryBound: 0
; FloatMode: 240
; IeeeMode: 1
; LDSByteSize: 0 bytes/workgroup (compile time only)
; SGPRBlocks: 0
; VGPRBlocks: 0
; NumSGPRsForWavesPerEU: 4
; NumVGPRsForWavesPerEU: 1
; AccumOffset: 4
; Occupancy: 8
; WaveLimiterHint : 0
; COMPUTE_PGM_RSRC2:SCRATCH_EN: 0
; COMPUTE_PGM_RSRC2:USER_SGPR: 6
; COMPUTE_PGM_RSRC2:TRAP_HANDLER: 0
; COMPUTE_PGM_RSRC2:TGID_X_EN: 1
; COMPUTE_PGM_RSRC2:TGID_Y_EN: 0
; COMPUTE_PGM_RSRC2:TGID_Z_EN: 0
; COMPUTE_PGM_RSRC2:TIDIG_COMP_CNT: 0
; COMPUTE_PGM_RSRC3_GFX90A:ACCUM_OFFSET: 0
; COMPUTE_PGM_RSRC3_GFX90A:TG_SPLIT: 0
	.section	.text._ZN7rocprim17ROCPRIM_400000_NS6detail31init_lookback_scan_state_kernelINS1_19lookback_scan_stateImLb1ELb1EEENS1_16block_id_wrapperIjLb1EEEEEvT_jT0_jPNS7_10value_typeE,"axG",@progbits,_ZN7rocprim17ROCPRIM_400000_NS6detail31init_lookback_scan_state_kernelINS1_19lookback_scan_stateImLb1ELb1EEENS1_16block_id_wrapperIjLb1EEEEEvT_jT0_jPNS7_10value_typeE,comdat
	.protected	_ZN7rocprim17ROCPRIM_400000_NS6detail31init_lookback_scan_state_kernelINS1_19lookback_scan_stateImLb1ELb1EEENS1_16block_id_wrapperIjLb1EEEEEvT_jT0_jPNS7_10value_typeE ; -- Begin function _ZN7rocprim17ROCPRIM_400000_NS6detail31init_lookback_scan_state_kernelINS1_19lookback_scan_stateImLb1ELb1EEENS1_16block_id_wrapperIjLb1EEEEEvT_jT0_jPNS7_10value_typeE
	.globl	_ZN7rocprim17ROCPRIM_400000_NS6detail31init_lookback_scan_state_kernelINS1_19lookback_scan_stateImLb1ELb1EEENS1_16block_id_wrapperIjLb1EEEEEvT_jT0_jPNS7_10value_typeE
	.p2align	8
	.type	_ZN7rocprim17ROCPRIM_400000_NS6detail31init_lookback_scan_state_kernelINS1_19lookback_scan_stateImLb1ELb1EEENS1_16block_id_wrapperIjLb1EEEEEvT_jT0_jPNS7_10value_typeE,@function
_ZN7rocprim17ROCPRIM_400000_NS6detail31init_lookback_scan_state_kernelINS1_19lookback_scan_stateImLb1ELb1EEENS1_16block_id_wrapperIjLb1EEEEEvT_jT0_jPNS7_10value_typeE: ; @_ZN7rocprim17ROCPRIM_400000_NS6detail31init_lookback_scan_state_kernelINS1_19lookback_scan_stateImLb1ELb1EEENS1_16block_id_wrapperIjLb1EEEEEvT_jT0_jPNS7_10value_typeE
; %bb.0:
	s_load_dword s7, s[4:5], 0x34
	s_load_dwordx2 s[2:3], s[4:5], 0x20
	s_load_dwordx2 s[0:1], s[4:5], 0x0
	s_load_dword s14, s[4:5], 0x8
	s_waitcnt lgkmcnt(0)
	s_and_b32 s7, s7, 0xffff
	s_mul_i32 s6, s6, s7
	s_cmp_eq_u64 s[2:3], 0
	v_add_u32_e32 v0, s6, v0
	s_cbranch_scc1 .LBB18_10
; %bb.1:
	s_load_dword s8, s[4:5], 0x18
	s_mov_b32 s9, 0
	s_waitcnt lgkmcnt(0)
	s_cmp_lt_u32 s8, s14
	s_cselect_b32 s6, s8, 0
	v_cmp_eq_u32_e32 vcc, s6, v0
	s_and_saveexec_b64 s[6:7], vcc
	s_cbranch_execz .LBB18_9
; %bb.2:
	s_add_i32 s8, s8, 64
	s_lshl_b64 s[8:9], s[8:9], 4
	s_add_u32 s12, s0, s8
	s_addc_u32 s13, s1, s9
	v_pk_mov_b32 v[2:3], s[12:13], s[12:13] op_sel:[0,1]
	;;#ASMSTART
	global_load_dwordx4 v[2:5], v[2:3] off glc	
s_waitcnt vmcnt(0)
	;;#ASMEND
	v_mov_b32_e32 v7, 0
	v_and_b32_e32 v6, 0xff, v4
	s_mov_b64 s[10:11], 0
	v_cmp_eq_u64_e32 vcc, 0, v[6:7]
	s_and_saveexec_b64 s[8:9], vcc
	s_cbranch_execz .LBB18_8
; %bb.3:
	s_mov_b32 s15, 1
	v_pk_mov_b32 v[8:9], s[12:13], s[12:13] op_sel:[0,1]
.LBB18_4:                               ; =>This Loop Header: Depth=1
                                        ;     Child Loop BB18_5 Depth 2
	s_max_u32 s12, s15, 1
.LBB18_5:                               ;   Parent Loop BB18_4 Depth=1
                                        ; =>  This Inner Loop Header: Depth=2
	s_add_i32 s12, s12, -1
	s_cmp_eq_u32 s12, 0
	s_sleep 1
	s_cbranch_scc0 .LBB18_5
; %bb.6:                                ;   in Loop: Header=BB18_4 Depth=1
	s_cmp_lt_u32 s15, 32
	s_cselect_b64 s[12:13], -1, 0
	s_cmp_lg_u64 s[12:13], 0
	;;#ASMSTART
	global_load_dwordx4 v[2:5], v[8:9] off glc	
s_waitcnt vmcnt(0)
	;;#ASMEND
	v_and_b32_e32 v6, 0xff, v4
	s_addc_u32 s15, s15, 0
	v_cmp_ne_u64_e32 vcc, 0, v[6:7]
	s_or_b64 s[10:11], vcc, s[10:11]
	s_andn2_b64 exec, exec, s[10:11]
	s_cbranch_execnz .LBB18_4
; %bb.7:
	s_or_b64 exec, exec, s[10:11]
.LBB18_8:
	s_or_b64 exec, exec, s[8:9]
	v_mov_b32_e32 v1, 0
	global_store_dwordx2 v1, v[2:3], s[2:3]
.LBB18_9:
	s_or_b64 exec, exec, s[6:7]
.LBB18_10:
	v_cmp_eq_u32_e32 vcc, 0, v0
	s_and_saveexec_b64 s[2:3], vcc
	s_cbranch_execnz .LBB18_14
; %bb.11:
	s_or_b64 exec, exec, s[2:3]
	v_cmp_gt_u32_e32 vcc, s14, v0
	s_and_saveexec_b64 s[2:3], vcc
	s_cbranch_execnz .LBB18_15
.LBB18_12:
	s_or_b64 exec, exec, s[2:3]
	v_cmp_gt_u32_e32 vcc, 64, v0
	s_and_saveexec_b64 s[2:3], vcc
	s_cbranch_execnz .LBB18_16
.LBB18_13:
	s_endpgm
.LBB18_14:
	s_load_dwordx2 s[4:5], s[4:5], 0x10
	v_mov_b32_e32 v1, 0
	s_waitcnt lgkmcnt(0)
	global_store_dword v1, v1, s[4:5]
	s_or_b64 exec, exec, s[2:3]
	v_cmp_gt_u32_e32 vcc, s14, v0
	s_and_saveexec_b64 s[2:3], vcc
	s_cbranch_execz .LBB18_12
.LBB18_15:
	v_add_u32_e32 v2, 64, v0
	v_mov_b32_e32 v3, 0
	v_lshlrev_b64 v[4:5], 4, v[2:3]
	v_mov_b32_e32 v1, s1
	v_add_co_u32_e32 v6, vcc, s0, v4
	v_addc_co_u32_e32 v7, vcc, v1, v5, vcc
	v_mov_b32_e32 v2, v3
	v_mov_b32_e32 v4, v3
	;; [unrolled: 1-line block ×3, first 2 shown]
	global_store_dwordx4 v[6:7], v[2:5], off
	s_or_b64 exec, exec, s[2:3]
	v_cmp_gt_u32_e32 vcc, 64, v0
	s_and_saveexec_b64 s[2:3], vcc
	s_cbranch_execz .LBB18_13
.LBB18_16:
	v_mov_b32_e32 v1, 0
	v_lshlrev_b64 v[2:3], 4, v[0:1]
	v_mov_b32_e32 v0, s1
	v_add_co_u32_e32 v4, vcc, s0, v2
	v_addc_co_u32_e32 v5, vcc, v0, v3, vcc
	v_mov_b32_e32 v2, 0xff
	v_mov_b32_e32 v0, v1
	;; [unrolled: 1-line block ×3, first 2 shown]
	global_store_dwordx4 v[4:5], v[0:3], off
	s_endpgm
	.section	.rodata,"a",@progbits
	.p2align	6, 0x0
	.amdhsa_kernel _ZN7rocprim17ROCPRIM_400000_NS6detail31init_lookback_scan_state_kernelINS1_19lookback_scan_stateImLb1ELb1EEENS1_16block_id_wrapperIjLb1EEEEEvT_jT0_jPNS7_10value_typeE
		.amdhsa_group_segment_fixed_size 0
		.amdhsa_private_segment_fixed_size 0
		.amdhsa_kernarg_size 296
		.amdhsa_user_sgpr_count 6
		.amdhsa_user_sgpr_private_segment_buffer 1
		.amdhsa_user_sgpr_dispatch_ptr 0
		.amdhsa_user_sgpr_queue_ptr 0
		.amdhsa_user_sgpr_kernarg_segment_ptr 1
		.amdhsa_user_sgpr_dispatch_id 0
		.amdhsa_user_sgpr_flat_scratch_init 0
		.amdhsa_user_sgpr_kernarg_preload_length 0
		.amdhsa_user_sgpr_kernarg_preload_offset 0
		.amdhsa_user_sgpr_private_segment_size 0
		.amdhsa_uses_dynamic_stack 0
		.amdhsa_system_sgpr_private_segment_wavefront_offset 0
		.amdhsa_system_sgpr_workgroup_id_x 1
		.amdhsa_system_sgpr_workgroup_id_y 0
		.amdhsa_system_sgpr_workgroup_id_z 0
		.amdhsa_system_sgpr_workgroup_info 0
		.amdhsa_system_vgpr_workitem_id 0
		.amdhsa_next_free_vgpr 10
		.amdhsa_next_free_sgpr 16
		.amdhsa_accum_offset 12
		.amdhsa_reserve_vcc 1
		.amdhsa_reserve_flat_scratch 0
		.amdhsa_float_round_mode_32 0
		.amdhsa_float_round_mode_16_64 0
		.amdhsa_float_denorm_mode_32 3
		.amdhsa_float_denorm_mode_16_64 3
		.amdhsa_dx10_clamp 1
		.amdhsa_ieee_mode 1
		.amdhsa_fp16_overflow 0
		.amdhsa_tg_split 0
		.amdhsa_exception_fp_ieee_invalid_op 0
		.amdhsa_exception_fp_denorm_src 0
		.amdhsa_exception_fp_ieee_div_zero 0
		.amdhsa_exception_fp_ieee_overflow 0
		.amdhsa_exception_fp_ieee_underflow 0
		.amdhsa_exception_fp_ieee_inexact 0
		.amdhsa_exception_int_div_zero 0
	.end_amdhsa_kernel
	.section	.text._ZN7rocprim17ROCPRIM_400000_NS6detail31init_lookback_scan_state_kernelINS1_19lookback_scan_stateImLb1ELb1EEENS1_16block_id_wrapperIjLb1EEEEEvT_jT0_jPNS7_10value_typeE,"axG",@progbits,_ZN7rocprim17ROCPRIM_400000_NS6detail31init_lookback_scan_state_kernelINS1_19lookback_scan_stateImLb1ELb1EEENS1_16block_id_wrapperIjLb1EEEEEvT_jT0_jPNS7_10value_typeE,comdat
.Lfunc_end18:
	.size	_ZN7rocprim17ROCPRIM_400000_NS6detail31init_lookback_scan_state_kernelINS1_19lookback_scan_stateImLb1ELb1EEENS1_16block_id_wrapperIjLb1EEEEEvT_jT0_jPNS7_10value_typeE, .Lfunc_end18-_ZN7rocprim17ROCPRIM_400000_NS6detail31init_lookback_scan_state_kernelINS1_19lookback_scan_stateImLb1ELb1EEENS1_16block_id_wrapperIjLb1EEEEEvT_jT0_jPNS7_10value_typeE
                                        ; -- End function
	.section	.AMDGPU.csdata,"",@progbits
; Kernel info:
; codeLenInByte = 480
; NumSgprs: 20
; NumVgprs: 10
; NumAgprs: 0
; TotalNumVgprs: 10
; ScratchSize: 0
; MemoryBound: 0
; FloatMode: 240
; IeeeMode: 1
; LDSByteSize: 0 bytes/workgroup (compile time only)
; SGPRBlocks: 2
; VGPRBlocks: 1
; NumSGPRsForWavesPerEU: 20
; NumVGPRsForWavesPerEU: 10
; AccumOffset: 12
; Occupancy: 8
; WaveLimiterHint : 0
; COMPUTE_PGM_RSRC2:SCRATCH_EN: 0
; COMPUTE_PGM_RSRC2:USER_SGPR: 6
; COMPUTE_PGM_RSRC2:TRAP_HANDLER: 0
; COMPUTE_PGM_RSRC2:TGID_X_EN: 1
; COMPUTE_PGM_RSRC2:TGID_Y_EN: 0
; COMPUTE_PGM_RSRC2:TGID_Z_EN: 0
; COMPUTE_PGM_RSRC2:TIDIG_COMP_CNT: 0
; COMPUTE_PGM_RSRC3_GFX90A:ACCUM_OFFSET: 2
; COMPUTE_PGM_RSRC3_GFX90A:TG_SPLIT: 0
	.section	.text._ZN7rocprim17ROCPRIM_400000_NS6detail17trampoline_kernelINS0_14default_configENS1_25partition_config_selectorILNS1_17partition_subalgoE5EiNS0_10empty_typeEbEEZZNS1_14partition_implILS5_5ELb0ES3_mN6thrust23THRUST_200600_302600_NS17counting_iteratorIiNSA_11use_defaultESC_SC_EEPS6_NSA_18transform_iteratorINSA_8identityIiEENSA_6detail15normal_iteratorINSA_10device_ptrIiEEEESC_SC_EENS0_5tupleIJSM_S6_EEENSO_IJSE_SE_EEES6_PlJS6_EEE10hipError_tPvRmT3_T4_T5_T6_T7_T9_mT8_P12ihipStream_tbDpT10_ENKUlT_T0_E_clISt17integral_constantIbLb1EES1B_EEDaS16_S17_EUlS16_E_NS1_11comp_targetILNS1_3genE0ELNS1_11target_archE4294967295ELNS1_3gpuE0ELNS1_3repE0EEENS1_30default_config_static_selectorELNS0_4arch9wavefront6targetE1EEEvT1_,"axG",@progbits,_ZN7rocprim17ROCPRIM_400000_NS6detail17trampoline_kernelINS0_14default_configENS1_25partition_config_selectorILNS1_17partition_subalgoE5EiNS0_10empty_typeEbEEZZNS1_14partition_implILS5_5ELb0ES3_mN6thrust23THRUST_200600_302600_NS17counting_iteratorIiNSA_11use_defaultESC_SC_EEPS6_NSA_18transform_iteratorINSA_8identityIiEENSA_6detail15normal_iteratorINSA_10device_ptrIiEEEESC_SC_EENS0_5tupleIJSM_S6_EEENSO_IJSE_SE_EEES6_PlJS6_EEE10hipError_tPvRmT3_T4_T5_T6_T7_T9_mT8_P12ihipStream_tbDpT10_ENKUlT_T0_E_clISt17integral_constantIbLb1EES1B_EEDaS16_S17_EUlS16_E_NS1_11comp_targetILNS1_3genE0ELNS1_11target_archE4294967295ELNS1_3gpuE0ELNS1_3repE0EEENS1_30default_config_static_selectorELNS0_4arch9wavefront6targetE1EEEvT1_,comdat
	.protected	_ZN7rocprim17ROCPRIM_400000_NS6detail17trampoline_kernelINS0_14default_configENS1_25partition_config_selectorILNS1_17partition_subalgoE5EiNS0_10empty_typeEbEEZZNS1_14partition_implILS5_5ELb0ES3_mN6thrust23THRUST_200600_302600_NS17counting_iteratorIiNSA_11use_defaultESC_SC_EEPS6_NSA_18transform_iteratorINSA_8identityIiEENSA_6detail15normal_iteratorINSA_10device_ptrIiEEEESC_SC_EENS0_5tupleIJSM_S6_EEENSO_IJSE_SE_EEES6_PlJS6_EEE10hipError_tPvRmT3_T4_T5_T6_T7_T9_mT8_P12ihipStream_tbDpT10_ENKUlT_T0_E_clISt17integral_constantIbLb1EES1B_EEDaS16_S17_EUlS16_E_NS1_11comp_targetILNS1_3genE0ELNS1_11target_archE4294967295ELNS1_3gpuE0ELNS1_3repE0EEENS1_30default_config_static_selectorELNS0_4arch9wavefront6targetE1EEEvT1_ ; -- Begin function _ZN7rocprim17ROCPRIM_400000_NS6detail17trampoline_kernelINS0_14default_configENS1_25partition_config_selectorILNS1_17partition_subalgoE5EiNS0_10empty_typeEbEEZZNS1_14partition_implILS5_5ELb0ES3_mN6thrust23THRUST_200600_302600_NS17counting_iteratorIiNSA_11use_defaultESC_SC_EEPS6_NSA_18transform_iteratorINSA_8identityIiEENSA_6detail15normal_iteratorINSA_10device_ptrIiEEEESC_SC_EENS0_5tupleIJSM_S6_EEENSO_IJSE_SE_EEES6_PlJS6_EEE10hipError_tPvRmT3_T4_T5_T6_T7_T9_mT8_P12ihipStream_tbDpT10_ENKUlT_T0_E_clISt17integral_constantIbLb1EES1B_EEDaS16_S17_EUlS16_E_NS1_11comp_targetILNS1_3genE0ELNS1_11target_archE4294967295ELNS1_3gpuE0ELNS1_3repE0EEENS1_30default_config_static_selectorELNS0_4arch9wavefront6targetE1EEEvT1_
	.globl	_ZN7rocprim17ROCPRIM_400000_NS6detail17trampoline_kernelINS0_14default_configENS1_25partition_config_selectorILNS1_17partition_subalgoE5EiNS0_10empty_typeEbEEZZNS1_14partition_implILS5_5ELb0ES3_mN6thrust23THRUST_200600_302600_NS17counting_iteratorIiNSA_11use_defaultESC_SC_EEPS6_NSA_18transform_iteratorINSA_8identityIiEENSA_6detail15normal_iteratorINSA_10device_ptrIiEEEESC_SC_EENS0_5tupleIJSM_S6_EEENSO_IJSE_SE_EEES6_PlJS6_EEE10hipError_tPvRmT3_T4_T5_T6_T7_T9_mT8_P12ihipStream_tbDpT10_ENKUlT_T0_E_clISt17integral_constantIbLb1EES1B_EEDaS16_S17_EUlS16_E_NS1_11comp_targetILNS1_3genE0ELNS1_11target_archE4294967295ELNS1_3gpuE0ELNS1_3repE0EEENS1_30default_config_static_selectorELNS0_4arch9wavefront6targetE1EEEvT1_
	.p2align	8
	.type	_ZN7rocprim17ROCPRIM_400000_NS6detail17trampoline_kernelINS0_14default_configENS1_25partition_config_selectorILNS1_17partition_subalgoE5EiNS0_10empty_typeEbEEZZNS1_14partition_implILS5_5ELb0ES3_mN6thrust23THRUST_200600_302600_NS17counting_iteratorIiNSA_11use_defaultESC_SC_EEPS6_NSA_18transform_iteratorINSA_8identityIiEENSA_6detail15normal_iteratorINSA_10device_ptrIiEEEESC_SC_EENS0_5tupleIJSM_S6_EEENSO_IJSE_SE_EEES6_PlJS6_EEE10hipError_tPvRmT3_T4_T5_T6_T7_T9_mT8_P12ihipStream_tbDpT10_ENKUlT_T0_E_clISt17integral_constantIbLb1EES1B_EEDaS16_S17_EUlS16_E_NS1_11comp_targetILNS1_3genE0ELNS1_11target_archE4294967295ELNS1_3gpuE0ELNS1_3repE0EEENS1_30default_config_static_selectorELNS0_4arch9wavefront6targetE1EEEvT1_,@function
_ZN7rocprim17ROCPRIM_400000_NS6detail17trampoline_kernelINS0_14default_configENS1_25partition_config_selectorILNS1_17partition_subalgoE5EiNS0_10empty_typeEbEEZZNS1_14partition_implILS5_5ELb0ES3_mN6thrust23THRUST_200600_302600_NS17counting_iteratorIiNSA_11use_defaultESC_SC_EEPS6_NSA_18transform_iteratorINSA_8identityIiEENSA_6detail15normal_iteratorINSA_10device_ptrIiEEEESC_SC_EENS0_5tupleIJSM_S6_EEENSO_IJSE_SE_EEES6_PlJS6_EEE10hipError_tPvRmT3_T4_T5_T6_T7_T9_mT8_P12ihipStream_tbDpT10_ENKUlT_T0_E_clISt17integral_constantIbLb1EES1B_EEDaS16_S17_EUlS16_E_NS1_11comp_targetILNS1_3genE0ELNS1_11target_archE4294967295ELNS1_3gpuE0ELNS1_3repE0EEENS1_30default_config_static_selectorELNS0_4arch9wavefront6targetE1EEEvT1_: ; @_ZN7rocprim17ROCPRIM_400000_NS6detail17trampoline_kernelINS0_14default_configENS1_25partition_config_selectorILNS1_17partition_subalgoE5EiNS0_10empty_typeEbEEZZNS1_14partition_implILS5_5ELb0ES3_mN6thrust23THRUST_200600_302600_NS17counting_iteratorIiNSA_11use_defaultESC_SC_EEPS6_NSA_18transform_iteratorINSA_8identityIiEENSA_6detail15normal_iteratorINSA_10device_ptrIiEEEESC_SC_EENS0_5tupleIJSM_S6_EEENSO_IJSE_SE_EEES6_PlJS6_EEE10hipError_tPvRmT3_T4_T5_T6_T7_T9_mT8_P12ihipStream_tbDpT10_ENKUlT_T0_E_clISt17integral_constantIbLb1EES1B_EEDaS16_S17_EUlS16_E_NS1_11comp_targetILNS1_3genE0ELNS1_11target_archE4294967295ELNS1_3gpuE0ELNS1_3repE0EEENS1_30default_config_static_selectorELNS0_4arch9wavefront6targetE1EEEvT1_
; %bb.0:
	.section	.rodata,"a",@progbits
	.p2align	6, 0x0
	.amdhsa_kernel _ZN7rocprim17ROCPRIM_400000_NS6detail17trampoline_kernelINS0_14default_configENS1_25partition_config_selectorILNS1_17partition_subalgoE5EiNS0_10empty_typeEbEEZZNS1_14partition_implILS5_5ELb0ES3_mN6thrust23THRUST_200600_302600_NS17counting_iteratorIiNSA_11use_defaultESC_SC_EEPS6_NSA_18transform_iteratorINSA_8identityIiEENSA_6detail15normal_iteratorINSA_10device_ptrIiEEEESC_SC_EENS0_5tupleIJSM_S6_EEENSO_IJSE_SE_EEES6_PlJS6_EEE10hipError_tPvRmT3_T4_T5_T6_T7_T9_mT8_P12ihipStream_tbDpT10_ENKUlT_T0_E_clISt17integral_constantIbLb1EES1B_EEDaS16_S17_EUlS16_E_NS1_11comp_targetILNS1_3genE0ELNS1_11target_archE4294967295ELNS1_3gpuE0ELNS1_3repE0EEENS1_30default_config_static_selectorELNS0_4arch9wavefront6targetE1EEEvT1_
		.amdhsa_group_segment_fixed_size 0
		.amdhsa_private_segment_fixed_size 0
		.amdhsa_kernarg_size 136
		.amdhsa_user_sgpr_count 6
		.amdhsa_user_sgpr_private_segment_buffer 1
		.amdhsa_user_sgpr_dispatch_ptr 0
		.amdhsa_user_sgpr_queue_ptr 0
		.amdhsa_user_sgpr_kernarg_segment_ptr 1
		.amdhsa_user_sgpr_dispatch_id 0
		.amdhsa_user_sgpr_flat_scratch_init 0
		.amdhsa_user_sgpr_kernarg_preload_length 0
		.amdhsa_user_sgpr_kernarg_preload_offset 0
		.amdhsa_user_sgpr_private_segment_size 0
		.amdhsa_uses_dynamic_stack 0
		.amdhsa_system_sgpr_private_segment_wavefront_offset 0
		.amdhsa_system_sgpr_workgroup_id_x 1
		.amdhsa_system_sgpr_workgroup_id_y 0
		.amdhsa_system_sgpr_workgroup_id_z 0
		.amdhsa_system_sgpr_workgroup_info 0
		.amdhsa_system_vgpr_workitem_id 0
		.amdhsa_next_free_vgpr 1
		.amdhsa_next_free_sgpr 0
		.amdhsa_accum_offset 4
		.amdhsa_reserve_vcc 0
		.amdhsa_reserve_flat_scratch 0
		.amdhsa_float_round_mode_32 0
		.amdhsa_float_round_mode_16_64 0
		.amdhsa_float_denorm_mode_32 3
		.amdhsa_float_denorm_mode_16_64 3
		.amdhsa_dx10_clamp 1
		.amdhsa_ieee_mode 1
		.amdhsa_fp16_overflow 0
		.amdhsa_tg_split 0
		.amdhsa_exception_fp_ieee_invalid_op 0
		.amdhsa_exception_fp_denorm_src 0
		.amdhsa_exception_fp_ieee_div_zero 0
		.amdhsa_exception_fp_ieee_overflow 0
		.amdhsa_exception_fp_ieee_underflow 0
		.amdhsa_exception_fp_ieee_inexact 0
		.amdhsa_exception_int_div_zero 0
	.end_amdhsa_kernel
	.section	.text._ZN7rocprim17ROCPRIM_400000_NS6detail17trampoline_kernelINS0_14default_configENS1_25partition_config_selectorILNS1_17partition_subalgoE5EiNS0_10empty_typeEbEEZZNS1_14partition_implILS5_5ELb0ES3_mN6thrust23THRUST_200600_302600_NS17counting_iteratorIiNSA_11use_defaultESC_SC_EEPS6_NSA_18transform_iteratorINSA_8identityIiEENSA_6detail15normal_iteratorINSA_10device_ptrIiEEEESC_SC_EENS0_5tupleIJSM_S6_EEENSO_IJSE_SE_EEES6_PlJS6_EEE10hipError_tPvRmT3_T4_T5_T6_T7_T9_mT8_P12ihipStream_tbDpT10_ENKUlT_T0_E_clISt17integral_constantIbLb1EES1B_EEDaS16_S17_EUlS16_E_NS1_11comp_targetILNS1_3genE0ELNS1_11target_archE4294967295ELNS1_3gpuE0ELNS1_3repE0EEENS1_30default_config_static_selectorELNS0_4arch9wavefront6targetE1EEEvT1_,"axG",@progbits,_ZN7rocprim17ROCPRIM_400000_NS6detail17trampoline_kernelINS0_14default_configENS1_25partition_config_selectorILNS1_17partition_subalgoE5EiNS0_10empty_typeEbEEZZNS1_14partition_implILS5_5ELb0ES3_mN6thrust23THRUST_200600_302600_NS17counting_iteratorIiNSA_11use_defaultESC_SC_EEPS6_NSA_18transform_iteratorINSA_8identityIiEENSA_6detail15normal_iteratorINSA_10device_ptrIiEEEESC_SC_EENS0_5tupleIJSM_S6_EEENSO_IJSE_SE_EEES6_PlJS6_EEE10hipError_tPvRmT3_T4_T5_T6_T7_T9_mT8_P12ihipStream_tbDpT10_ENKUlT_T0_E_clISt17integral_constantIbLb1EES1B_EEDaS16_S17_EUlS16_E_NS1_11comp_targetILNS1_3genE0ELNS1_11target_archE4294967295ELNS1_3gpuE0ELNS1_3repE0EEENS1_30default_config_static_selectorELNS0_4arch9wavefront6targetE1EEEvT1_,comdat
.Lfunc_end19:
	.size	_ZN7rocprim17ROCPRIM_400000_NS6detail17trampoline_kernelINS0_14default_configENS1_25partition_config_selectorILNS1_17partition_subalgoE5EiNS0_10empty_typeEbEEZZNS1_14partition_implILS5_5ELb0ES3_mN6thrust23THRUST_200600_302600_NS17counting_iteratorIiNSA_11use_defaultESC_SC_EEPS6_NSA_18transform_iteratorINSA_8identityIiEENSA_6detail15normal_iteratorINSA_10device_ptrIiEEEESC_SC_EENS0_5tupleIJSM_S6_EEENSO_IJSE_SE_EEES6_PlJS6_EEE10hipError_tPvRmT3_T4_T5_T6_T7_T9_mT8_P12ihipStream_tbDpT10_ENKUlT_T0_E_clISt17integral_constantIbLb1EES1B_EEDaS16_S17_EUlS16_E_NS1_11comp_targetILNS1_3genE0ELNS1_11target_archE4294967295ELNS1_3gpuE0ELNS1_3repE0EEENS1_30default_config_static_selectorELNS0_4arch9wavefront6targetE1EEEvT1_, .Lfunc_end19-_ZN7rocprim17ROCPRIM_400000_NS6detail17trampoline_kernelINS0_14default_configENS1_25partition_config_selectorILNS1_17partition_subalgoE5EiNS0_10empty_typeEbEEZZNS1_14partition_implILS5_5ELb0ES3_mN6thrust23THRUST_200600_302600_NS17counting_iteratorIiNSA_11use_defaultESC_SC_EEPS6_NSA_18transform_iteratorINSA_8identityIiEENSA_6detail15normal_iteratorINSA_10device_ptrIiEEEESC_SC_EENS0_5tupleIJSM_S6_EEENSO_IJSE_SE_EEES6_PlJS6_EEE10hipError_tPvRmT3_T4_T5_T6_T7_T9_mT8_P12ihipStream_tbDpT10_ENKUlT_T0_E_clISt17integral_constantIbLb1EES1B_EEDaS16_S17_EUlS16_E_NS1_11comp_targetILNS1_3genE0ELNS1_11target_archE4294967295ELNS1_3gpuE0ELNS1_3repE0EEENS1_30default_config_static_selectorELNS0_4arch9wavefront6targetE1EEEvT1_
                                        ; -- End function
	.section	.AMDGPU.csdata,"",@progbits
; Kernel info:
; codeLenInByte = 0
; NumSgprs: 4
; NumVgprs: 0
; NumAgprs: 0
; TotalNumVgprs: 0
; ScratchSize: 0
; MemoryBound: 0
; FloatMode: 240
; IeeeMode: 1
; LDSByteSize: 0 bytes/workgroup (compile time only)
; SGPRBlocks: 0
; VGPRBlocks: 0
; NumSGPRsForWavesPerEU: 4
; NumVGPRsForWavesPerEU: 1
; AccumOffset: 4
; Occupancy: 8
; WaveLimiterHint : 0
; COMPUTE_PGM_RSRC2:SCRATCH_EN: 0
; COMPUTE_PGM_RSRC2:USER_SGPR: 6
; COMPUTE_PGM_RSRC2:TRAP_HANDLER: 0
; COMPUTE_PGM_RSRC2:TGID_X_EN: 1
; COMPUTE_PGM_RSRC2:TGID_Y_EN: 0
; COMPUTE_PGM_RSRC2:TGID_Z_EN: 0
; COMPUTE_PGM_RSRC2:TIDIG_COMP_CNT: 0
; COMPUTE_PGM_RSRC3_GFX90A:ACCUM_OFFSET: 0
; COMPUTE_PGM_RSRC3_GFX90A:TG_SPLIT: 0
	.section	.text._ZN7rocprim17ROCPRIM_400000_NS6detail17trampoline_kernelINS0_14default_configENS1_25partition_config_selectorILNS1_17partition_subalgoE5EiNS0_10empty_typeEbEEZZNS1_14partition_implILS5_5ELb0ES3_mN6thrust23THRUST_200600_302600_NS17counting_iteratorIiNSA_11use_defaultESC_SC_EEPS6_NSA_18transform_iteratorINSA_8identityIiEENSA_6detail15normal_iteratorINSA_10device_ptrIiEEEESC_SC_EENS0_5tupleIJSM_S6_EEENSO_IJSE_SE_EEES6_PlJS6_EEE10hipError_tPvRmT3_T4_T5_T6_T7_T9_mT8_P12ihipStream_tbDpT10_ENKUlT_T0_E_clISt17integral_constantIbLb1EES1B_EEDaS16_S17_EUlS16_E_NS1_11comp_targetILNS1_3genE5ELNS1_11target_archE942ELNS1_3gpuE9ELNS1_3repE0EEENS1_30default_config_static_selectorELNS0_4arch9wavefront6targetE1EEEvT1_,"axG",@progbits,_ZN7rocprim17ROCPRIM_400000_NS6detail17trampoline_kernelINS0_14default_configENS1_25partition_config_selectorILNS1_17partition_subalgoE5EiNS0_10empty_typeEbEEZZNS1_14partition_implILS5_5ELb0ES3_mN6thrust23THRUST_200600_302600_NS17counting_iteratorIiNSA_11use_defaultESC_SC_EEPS6_NSA_18transform_iteratorINSA_8identityIiEENSA_6detail15normal_iteratorINSA_10device_ptrIiEEEESC_SC_EENS0_5tupleIJSM_S6_EEENSO_IJSE_SE_EEES6_PlJS6_EEE10hipError_tPvRmT3_T4_T5_T6_T7_T9_mT8_P12ihipStream_tbDpT10_ENKUlT_T0_E_clISt17integral_constantIbLb1EES1B_EEDaS16_S17_EUlS16_E_NS1_11comp_targetILNS1_3genE5ELNS1_11target_archE942ELNS1_3gpuE9ELNS1_3repE0EEENS1_30default_config_static_selectorELNS0_4arch9wavefront6targetE1EEEvT1_,comdat
	.protected	_ZN7rocprim17ROCPRIM_400000_NS6detail17trampoline_kernelINS0_14default_configENS1_25partition_config_selectorILNS1_17partition_subalgoE5EiNS0_10empty_typeEbEEZZNS1_14partition_implILS5_5ELb0ES3_mN6thrust23THRUST_200600_302600_NS17counting_iteratorIiNSA_11use_defaultESC_SC_EEPS6_NSA_18transform_iteratorINSA_8identityIiEENSA_6detail15normal_iteratorINSA_10device_ptrIiEEEESC_SC_EENS0_5tupleIJSM_S6_EEENSO_IJSE_SE_EEES6_PlJS6_EEE10hipError_tPvRmT3_T4_T5_T6_T7_T9_mT8_P12ihipStream_tbDpT10_ENKUlT_T0_E_clISt17integral_constantIbLb1EES1B_EEDaS16_S17_EUlS16_E_NS1_11comp_targetILNS1_3genE5ELNS1_11target_archE942ELNS1_3gpuE9ELNS1_3repE0EEENS1_30default_config_static_selectorELNS0_4arch9wavefront6targetE1EEEvT1_ ; -- Begin function _ZN7rocprim17ROCPRIM_400000_NS6detail17trampoline_kernelINS0_14default_configENS1_25partition_config_selectorILNS1_17partition_subalgoE5EiNS0_10empty_typeEbEEZZNS1_14partition_implILS5_5ELb0ES3_mN6thrust23THRUST_200600_302600_NS17counting_iteratorIiNSA_11use_defaultESC_SC_EEPS6_NSA_18transform_iteratorINSA_8identityIiEENSA_6detail15normal_iteratorINSA_10device_ptrIiEEEESC_SC_EENS0_5tupleIJSM_S6_EEENSO_IJSE_SE_EEES6_PlJS6_EEE10hipError_tPvRmT3_T4_T5_T6_T7_T9_mT8_P12ihipStream_tbDpT10_ENKUlT_T0_E_clISt17integral_constantIbLb1EES1B_EEDaS16_S17_EUlS16_E_NS1_11comp_targetILNS1_3genE5ELNS1_11target_archE942ELNS1_3gpuE9ELNS1_3repE0EEENS1_30default_config_static_selectorELNS0_4arch9wavefront6targetE1EEEvT1_
	.globl	_ZN7rocprim17ROCPRIM_400000_NS6detail17trampoline_kernelINS0_14default_configENS1_25partition_config_selectorILNS1_17partition_subalgoE5EiNS0_10empty_typeEbEEZZNS1_14partition_implILS5_5ELb0ES3_mN6thrust23THRUST_200600_302600_NS17counting_iteratorIiNSA_11use_defaultESC_SC_EEPS6_NSA_18transform_iteratorINSA_8identityIiEENSA_6detail15normal_iteratorINSA_10device_ptrIiEEEESC_SC_EENS0_5tupleIJSM_S6_EEENSO_IJSE_SE_EEES6_PlJS6_EEE10hipError_tPvRmT3_T4_T5_T6_T7_T9_mT8_P12ihipStream_tbDpT10_ENKUlT_T0_E_clISt17integral_constantIbLb1EES1B_EEDaS16_S17_EUlS16_E_NS1_11comp_targetILNS1_3genE5ELNS1_11target_archE942ELNS1_3gpuE9ELNS1_3repE0EEENS1_30default_config_static_selectorELNS0_4arch9wavefront6targetE1EEEvT1_
	.p2align	8
	.type	_ZN7rocprim17ROCPRIM_400000_NS6detail17trampoline_kernelINS0_14default_configENS1_25partition_config_selectorILNS1_17partition_subalgoE5EiNS0_10empty_typeEbEEZZNS1_14partition_implILS5_5ELb0ES3_mN6thrust23THRUST_200600_302600_NS17counting_iteratorIiNSA_11use_defaultESC_SC_EEPS6_NSA_18transform_iteratorINSA_8identityIiEENSA_6detail15normal_iteratorINSA_10device_ptrIiEEEESC_SC_EENS0_5tupleIJSM_S6_EEENSO_IJSE_SE_EEES6_PlJS6_EEE10hipError_tPvRmT3_T4_T5_T6_T7_T9_mT8_P12ihipStream_tbDpT10_ENKUlT_T0_E_clISt17integral_constantIbLb1EES1B_EEDaS16_S17_EUlS16_E_NS1_11comp_targetILNS1_3genE5ELNS1_11target_archE942ELNS1_3gpuE9ELNS1_3repE0EEENS1_30default_config_static_selectorELNS0_4arch9wavefront6targetE1EEEvT1_,@function
_ZN7rocprim17ROCPRIM_400000_NS6detail17trampoline_kernelINS0_14default_configENS1_25partition_config_selectorILNS1_17partition_subalgoE5EiNS0_10empty_typeEbEEZZNS1_14partition_implILS5_5ELb0ES3_mN6thrust23THRUST_200600_302600_NS17counting_iteratorIiNSA_11use_defaultESC_SC_EEPS6_NSA_18transform_iteratorINSA_8identityIiEENSA_6detail15normal_iteratorINSA_10device_ptrIiEEEESC_SC_EENS0_5tupleIJSM_S6_EEENSO_IJSE_SE_EEES6_PlJS6_EEE10hipError_tPvRmT3_T4_T5_T6_T7_T9_mT8_P12ihipStream_tbDpT10_ENKUlT_T0_E_clISt17integral_constantIbLb1EES1B_EEDaS16_S17_EUlS16_E_NS1_11comp_targetILNS1_3genE5ELNS1_11target_archE942ELNS1_3gpuE9ELNS1_3repE0EEENS1_30default_config_static_selectorELNS0_4arch9wavefront6targetE1EEEvT1_: ; @_ZN7rocprim17ROCPRIM_400000_NS6detail17trampoline_kernelINS0_14default_configENS1_25partition_config_selectorILNS1_17partition_subalgoE5EiNS0_10empty_typeEbEEZZNS1_14partition_implILS5_5ELb0ES3_mN6thrust23THRUST_200600_302600_NS17counting_iteratorIiNSA_11use_defaultESC_SC_EEPS6_NSA_18transform_iteratorINSA_8identityIiEENSA_6detail15normal_iteratorINSA_10device_ptrIiEEEESC_SC_EENS0_5tupleIJSM_S6_EEENSO_IJSE_SE_EEES6_PlJS6_EEE10hipError_tPvRmT3_T4_T5_T6_T7_T9_mT8_P12ihipStream_tbDpT10_ENKUlT_T0_E_clISt17integral_constantIbLb1EES1B_EEDaS16_S17_EUlS16_E_NS1_11comp_targetILNS1_3genE5ELNS1_11target_archE942ELNS1_3gpuE9ELNS1_3repE0EEENS1_30default_config_static_selectorELNS0_4arch9wavefront6targetE1EEEvT1_
; %bb.0:
	.section	.rodata,"a",@progbits
	.p2align	6, 0x0
	.amdhsa_kernel _ZN7rocprim17ROCPRIM_400000_NS6detail17trampoline_kernelINS0_14default_configENS1_25partition_config_selectorILNS1_17partition_subalgoE5EiNS0_10empty_typeEbEEZZNS1_14partition_implILS5_5ELb0ES3_mN6thrust23THRUST_200600_302600_NS17counting_iteratorIiNSA_11use_defaultESC_SC_EEPS6_NSA_18transform_iteratorINSA_8identityIiEENSA_6detail15normal_iteratorINSA_10device_ptrIiEEEESC_SC_EENS0_5tupleIJSM_S6_EEENSO_IJSE_SE_EEES6_PlJS6_EEE10hipError_tPvRmT3_T4_T5_T6_T7_T9_mT8_P12ihipStream_tbDpT10_ENKUlT_T0_E_clISt17integral_constantIbLb1EES1B_EEDaS16_S17_EUlS16_E_NS1_11comp_targetILNS1_3genE5ELNS1_11target_archE942ELNS1_3gpuE9ELNS1_3repE0EEENS1_30default_config_static_selectorELNS0_4arch9wavefront6targetE1EEEvT1_
		.amdhsa_group_segment_fixed_size 0
		.amdhsa_private_segment_fixed_size 0
		.amdhsa_kernarg_size 136
		.amdhsa_user_sgpr_count 6
		.amdhsa_user_sgpr_private_segment_buffer 1
		.amdhsa_user_sgpr_dispatch_ptr 0
		.amdhsa_user_sgpr_queue_ptr 0
		.amdhsa_user_sgpr_kernarg_segment_ptr 1
		.amdhsa_user_sgpr_dispatch_id 0
		.amdhsa_user_sgpr_flat_scratch_init 0
		.amdhsa_user_sgpr_kernarg_preload_length 0
		.amdhsa_user_sgpr_kernarg_preload_offset 0
		.amdhsa_user_sgpr_private_segment_size 0
		.amdhsa_uses_dynamic_stack 0
		.amdhsa_system_sgpr_private_segment_wavefront_offset 0
		.amdhsa_system_sgpr_workgroup_id_x 1
		.amdhsa_system_sgpr_workgroup_id_y 0
		.amdhsa_system_sgpr_workgroup_id_z 0
		.amdhsa_system_sgpr_workgroup_info 0
		.amdhsa_system_vgpr_workitem_id 0
		.amdhsa_next_free_vgpr 1
		.amdhsa_next_free_sgpr 0
		.amdhsa_accum_offset 4
		.amdhsa_reserve_vcc 0
		.amdhsa_reserve_flat_scratch 0
		.amdhsa_float_round_mode_32 0
		.amdhsa_float_round_mode_16_64 0
		.amdhsa_float_denorm_mode_32 3
		.amdhsa_float_denorm_mode_16_64 3
		.amdhsa_dx10_clamp 1
		.amdhsa_ieee_mode 1
		.amdhsa_fp16_overflow 0
		.amdhsa_tg_split 0
		.amdhsa_exception_fp_ieee_invalid_op 0
		.amdhsa_exception_fp_denorm_src 0
		.amdhsa_exception_fp_ieee_div_zero 0
		.amdhsa_exception_fp_ieee_overflow 0
		.amdhsa_exception_fp_ieee_underflow 0
		.amdhsa_exception_fp_ieee_inexact 0
		.amdhsa_exception_int_div_zero 0
	.end_amdhsa_kernel
	.section	.text._ZN7rocprim17ROCPRIM_400000_NS6detail17trampoline_kernelINS0_14default_configENS1_25partition_config_selectorILNS1_17partition_subalgoE5EiNS0_10empty_typeEbEEZZNS1_14partition_implILS5_5ELb0ES3_mN6thrust23THRUST_200600_302600_NS17counting_iteratorIiNSA_11use_defaultESC_SC_EEPS6_NSA_18transform_iteratorINSA_8identityIiEENSA_6detail15normal_iteratorINSA_10device_ptrIiEEEESC_SC_EENS0_5tupleIJSM_S6_EEENSO_IJSE_SE_EEES6_PlJS6_EEE10hipError_tPvRmT3_T4_T5_T6_T7_T9_mT8_P12ihipStream_tbDpT10_ENKUlT_T0_E_clISt17integral_constantIbLb1EES1B_EEDaS16_S17_EUlS16_E_NS1_11comp_targetILNS1_3genE5ELNS1_11target_archE942ELNS1_3gpuE9ELNS1_3repE0EEENS1_30default_config_static_selectorELNS0_4arch9wavefront6targetE1EEEvT1_,"axG",@progbits,_ZN7rocprim17ROCPRIM_400000_NS6detail17trampoline_kernelINS0_14default_configENS1_25partition_config_selectorILNS1_17partition_subalgoE5EiNS0_10empty_typeEbEEZZNS1_14partition_implILS5_5ELb0ES3_mN6thrust23THRUST_200600_302600_NS17counting_iteratorIiNSA_11use_defaultESC_SC_EEPS6_NSA_18transform_iteratorINSA_8identityIiEENSA_6detail15normal_iteratorINSA_10device_ptrIiEEEESC_SC_EENS0_5tupleIJSM_S6_EEENSO_IJSE_SE_EEES6_PlJS6_EEE10hipError_tPvRmT3_T4_T5_T6_T7_T9_mT8_P12ihipStream_tbDpT10_ENKUlT_T0_E_clISt17integral_constantIbLb1EES1B_EEDaS16_S17_EUlS16_E_NS1_11comp_targetILNS1_3genE5ELNS1_11target_archE942ELNS1_3gpuE9ELNS1_3repE0EEENS1_30default_config_static_selectorELNS0_4arch9wavefront6targetE1EEEvT1_,comdat
.Lfunc_end20:
	.size	_ZN7rocprim17ROCPRIM_400000_NS6detail17trampoline_kernelINS0_14default_configENS1_25partition_config_selectorILNS1_17partition_subalgoE5EiNS0_10empty_typeEbEEZZNS1_14partition_implILS5_5ELb0ES3_mN6thrust23THRUST_200600_302600_NS17counting_iteratorIiNSA_11use_defaultESC_SC_EEPS6_NSA_18transform_iteratorINSA_8identityIiEENSA_6detail15normal_iteratorINSA_10device_ptrIiEEEESC_SC_EENS0_5tupleIJSM_S6_EEENSO_IJSE_SE_EEES6_PlJS6_EEE10hipError_tPvRmT3_T4_T5_T6_T7_T9_mT8_P12ihipStream_tbDpT10_ENKUlT_T0_E_clISt17integral_constantIbLb1EES1B_EEDaS16_S17_EUlS16_E_NS1_11comp_targetILNS1_3genE5ELNS1_11target_archE942ELNS1_3gpuE9ELNS1_3repE0EEENS1_30default_config_static_selectorELNS0_4arch9wavefront6targetE1EEEvT1_, .Lfunc_end20-_ZN7rocprim17ROCPRIM_400000_NS6detail17trampoline_kernelINS0_14default_configENS1_25partition_config_selectorILNS1_17partition_subalgoE5EiNS0_10empty_typeEbEEZZNS1_14partition_implILS5_5ELb0ES3_mN6thrust23THRUST_200600_302600_NS17counting_iteratorIiNSA_11use_defaultESC_SC_EEPS6_NSA_18transform_iteratorINSA_8identityIiEENSA_6detail15normal_iteratorINSA_10device_ptrIiEEEESC_SC_EENS0_5tupleIJSM_S6_EEENSO_IJSE_SE_EEES6_PlJS6_EEE10hipError_tPvRmT3_T4_T5_T6_T7_T9_mT8_P12ihipStream_tbDpT10_ENKUlT_T0_E_clISt17integral_constantIbLb1EES1B_EEDaS16_S17_EUlS16_E_NS1_11comp_targetILNS1_3genE5ELNS1_11target_archE942ELNS1_3gpuE9ELNS1_3repE0EEENS1_30default_config_static_selectorELNS0_4arch9wavefront6targetE1EEEvT1_
                                        ; -- End function
	.section	.AMDGPU.csdata,"",@progbits
; Kernel info:
; codeLenInByte = 0
; NumSgprs: 4
; NumVgprs: 0
; NumAgprs: 0
; TotalNumVgprs: 0
; ScratchSize: 0
; MemoryBound: 0
; FloatMode: 240
; IeeeMode: 1
; LDSByteSize: 0 bytes/workgroup (compile time only)
; SGPRBlocks: 0
; VGPRBlocks: 0
; NumSGPRsForWavesPerEU: 4
; NumVGPRsForWavesPerEU: 1
; AccumOffset: 4
; Occupancy: 8
; WaveLimiterHint : 0
; COMPUTE_PGM_RSRC2:SCRATCH_EN: 0
; COMPUTE_PGM_RSRC2:USER_SGPR: 6
; COMPUTE_PGM_RSRC2:TRAP_HANDLER: 0
; COMPUTE_PGM_RSRC2:TGID_X_EN: 1
; COMPUTE_PGM_RSRC2:TGID_Y_EN: 0
; COMPUTE_PGM_RSRC2:TGID_Z_EN: 0
; COMPUTE_PGM_RSRC2:TIDIG_COMP_CNT: 0
; COMPUTE_PGM_RSRC3_GFX90A:ACCUM_OFFSET: 0
; COMPUTE_PGM_RSRC3_GFX90A:TG_SPLIT: 0
	.section	.text._ZN7rocprim17ROCPRIM_400000_NS6detail17trampoline_kernelINS0_14default_configENS1_25partition_config_selectorILNS1_17partition_subalgoE5EiNS0_10empty_typeEbEEZZNS1_14partition_implILS5_5ELb0ES3_mN6thrust23THRUST_200600_302600_NS17counting_iteratorIiNSA_11use_defaultESC_SC_EEPS6_NSA_18transform_iteratorINSA_8identityIiEENSA_6detail15normal_iteratorINSA_10device_ptrIiEEEESC_SC_EENS0_5tupleIJSM_S6_EEENSO_IJSE_SE_EEES6_PlJS6_EEE10hipError_tPvRmT3_T4_T5_T6_T7_T9_mT8_P12ihipStream_tbDpT10_ENKUlT_T0_E_clISt17integral_constantIbLb1EES1B_EEDaS16_S17_EUlS16_E_NS1_11comp_targetILNS1_3genE4ELNS1_11target_archE910ELNS1_3gpuE8ELNS1_3repE0EEENS1_30default_config_static_selectorELNS0_4arch9wavefront6targetE1EEEvT1_,"axG",@progbits,_ZN7rocprim17ROCPRIM_400000_NS6detail17trampoline_kernelINS0_14default_configENS1_25partition_config_selectorILNS1_17partition_subalgoE5EiNS0_10empty_typeEbEEZZNS1_14partition_implILS5_5ELb0ES3_mN6thrust23THRUST_200600_302600_NS17counting_iteratorIiNSA_11use_defaultESC_SC_EEPS6_NSA_18transform_iteratorINSA_8identityIiEENSA_6detail15normal_iteratorINSA_10device_ptrIiEEEESC_SC_EENS0_5tupleIJSM_S6_EEENSO_IJSE_SE_EEES6_PlJS6_EEE10hipError_tPvRmT3_T4_T5_T6_T7_T9_mT8_P12ihipStream_tbDpT10_ENKUlT_T0_E_clISt17integral_constantIbLb1EES1B_EEDaS16_S17_EUlS16_E_NS1_11comp_targetILNS1_3genE4ELNS1_11target_archE910ELNS1_3gpuE8ELNS1_3repE0EEENS1_30default_config_static_selectorELNS0_4arch9wavefront6targetE1EEEvT1_,comdat
	.protected	_ZN7rocprim17ROCPRIM_400000_NS6detail17trampoline_kernelINS0_14default_configENS1_25partition_config_selectorILNS1_17partition_subalgoE5EiNS0_10empty_typeEbEEZZNS1_14partition_implILS5_5ELb0ES3_mN6thrust23THRUST_200600_302600_NS17counting_iteratorIiNSA_11use_defaultESC_SC_EEPS6_NSA_18transform_iteratorINSA_8identityIiEENSA_6detail15normal_iteratorINSA_10device_ptrIiEEEESC_SC_EENS0_5tupleIJSM_S6_EEENSO_IJSE_SE_EEES6_PlJS6_EEE10hipError_tPvRmT3_T4_T5_T6_T7_T9_mT8_P12ihipStream_tbDpT10_ENKUlT_T0_E_clISt17integral_constantIbLb1EES1B_EEDaS16_S17_EUlS16_E_NS1_11comp_targetILNS1_3genE4ELNS1_11target_archE910ELNS1_3gpuE8ELNS1_3repE0EEENS1_30default_config_static_selectorELNS0_4arch9wavefront6targetE1EEEvT1_ ; -- Begin function _ZN7rocprim17ROCPRIM_400000_NS6detail17trampoline_kernelINS0_14default_configENS1_25partition_config_selectorILNS1_17partition_subalgoE5EiNS0_10empty_typeEbEEZZNS1_14partition_implILS5_5ELb0ES3_mN6thrust23THRUST_200600_302600_NS17counting_iteratorIiNSA_11use_defaultESC_SC_EEPS6_NSA_18transform_iteratorINSA_8identityIiEENSA_6detail15normal_iteratorINSA_10device_ptrIiEEEESC_SC_EENS0_5tupleIJSM_S6_EEENSO_IJSE_SE_EEES6_PlJS6_EEE10hipError_tPvRmT3_T4_T5_T6_T7_T9_mT8_P12ihipStream_tbDpT10_ENKUlT_T0_E_clISt17integral_constantIbLb1EES1B_EEDaS16_S17_EUlS16_E_NS1_11comp_targetILNS1_3genE4ELNS1_11target_archE910ELNS1_3gpuE8ELNS1_3repE0EEENS1_30default_config_static_selectorELNS0_4arch9wavefront6targetE1EEEvT1_
	.globl	_ZN7rocprim17ROCPRIM_400000_NS6detail17trampoline_kernelINS0_14default_configENS1_25partition_config_selectorILNS1_17partition_subalgoE5EiNS0_10empty_typeEbEEZZNS1_14partition_implILS5_5ELb0ES3_mN6thrust23THRUST_200600_302600_NS17counting_iteratorIiNSA_11use_defaultESC_SC_EEPS6_NSA_18transform_iteratorINSA_8identityIiEENSA_6detail15normal_iteratorINSA_10device_ptrIiEEEESC_SC_EENS0_5tupleIJSM_S6_EEENSO_IJSE_SE_EEES6_PlJS6_EEE10hipError_tPvRmT3_T4_T5_T6_T7_T9_mT8_P12ihipStream_tbDpT10_ENKUlT_T0_E_clISt17integral_constantIbLb1EES1B_EEDaS16_S17_EUlS16_E_NS1_11comp_targetILNS1_3genE4ELNS1_11target_archE910ELNS1_3gpuE8ELNS1_3repE0EEENS1_30default_config_static_selectorELNS0_4arch9wavefront6targetE1EEEvT1_
	.p2align	8
	.type	_ZN7rocprim17ROCPRIM_400000_NS6detail17trampoline_kernelINS0_14default_configENS1_25partition_config_selectorILNS1_17partition_subalgoE5EiNS0_10empty_typeEbEEZZNS1_14partition_implILS5_5ELb0ES3_mN6thrust23THRUST_200600_302600_NS17counting_iteratorIiNSA_11use_defaultESC_SC_EEPS6_NSA_18transform_iteratorINSA_8identityIiEENSA_6detail15normal_iteratorINSA_10device_ptrIiEEEESC_SC_EENS0_5tupleIJSM_S6_EEENSO_IJSE_SE_EEES6_PlJS6_EEE10hipError_tPvRmT3_T4_T5_T6_T7_T9_mT8_P12ihipStream_tbDpT10_ENKUlT_T0_E_clISt17integral_constantIbLb1EES1B_EEDaS16_S17_EUlS16_E_NS1_11comp_targetILNS1_3genE4ELNS1_11target_archE910ELNS1_3gpuE8ELNS1_3repE0EEENS1_30default_config_static_selectorELNS0_4arch9wavefront6targetE1EEEvT1_,@function
_ZN7rocprim17ROCPRIM_400000_NS6detail17trampoline_kernelINS0_14default_configENS1_25partition_config_selectorILNS1_17partition_subalgoE5EiNS0_10empty_typeEbEEZZNS1_14partition_implILS5_5ELb0ES3_mN6thrust23THRUST_200600_302600_NS17counting_iteratorIiNSA_11use_defaultESC_SC_EEPS6_NSA_18transform_iteratorINSA_8identityIiEENSA_6detail15normal_iteratorINSA_10device_ptrIiEEEESC_SC_EENS0_5tupleIJSM_S6_EEENSO_IJSE_SE_EEES6_PlJS6_EEE10hipError_tPvRmT3_T4_T5_T6_T7_T9_mT8_P12ihipStream_tbDpT10_ENKUlT_T0_E_clISt17integral_constantIbLb1EES1B_EEDaS16_S17_EUlS16_E_NS1_11comp_targetILNS1_3genE4ELNS1_11target_archE910ELNS1_3gpuE8ELNS1_3repE0EEENS1_30default_config_static_selectorELNS0_4arch9wavefront6targetE1EEEvT1_: ; @_ZN7rocprim17ROCPRIM_400000_NS6detail17trampoline_kernelINS0_14default_configENS1_25partition_config_selectorILNS1_17partition_subalgoE5EiNS0_10empty_typeEbEEZZNS1_14partition_implILS5_5ELb0ES3_mN6thrust23THRUST_200600_302600_NS17counting_iteratorIiNSA_11use_defaultESC_SC_EEPS6_NSA_18transform_iteratorINSA_8identityIiEENSA_6detail15normal_iteratorINSA_10device_ptrIiEEEESC_SC_EENS0_5tupleIJSM_S6_EEENSO_IJSE_SE_EEES6_PlJS6_EEE10hipError_tPvRmT3_T4_T5_T6_T7_T9_mT8_P12ihipStream_tbDpT10_ENKUlT_T0_E_clISt17integral_constantIbLb1EES1B_EEDaS16_S17_EUlS16_E_NS1_11comp_targetILNS1_3genE4ELNS1_11target_archE910ELNS1_3gpuE8ELNS1_3repE0EEENS1_30default_config_static_selectorELNS0_4arch9wavefront6targetE1EEEvT1_
; %bb.0:
	s_load_dwordx2 s[2:3], s[4:5], 0x10
	s_load_dwordx2 s[8:9], s[4:5], 0x20
	;; [unrolled: 1-line block ×4, first 2 shown]
	s_load_dwordx4 s[16:19], s[4:5], 0x48
	s_load_dwordx2 s[22:23], s[4:5], 0x68
	v_cmp_eq_u32_e64 s[0:1], 0, v0
	s_and_saveexec_b64 s[10:11], s[0:1]
	s_cbranch_execz .LBB21_4
; %bb.1:
	s_mov_b64 s[20:21], exec
	v_mbcnt_lo_u32_b32 v1, s20, 0
	v_mbcnt_hi_u32_b32 v1, s21, v1
	v_cmp_eq_u32_e32 vcc, 0, v1
                                        ; implicit-def: $vgpr2
	s_and_saveexec_b64 s[12:13], vcc
	s_cbranch_execz .LBB21_3
; %bb.2:
	s_load_dwordx2 s[24:25], s[4:5], 0x78
	s_bcnt1_i32_b64 s20, s[20:21]
	v_mov_b32_e32 v2, 0
	v_mov_b32_e32 v3, s20
	s_waitcnt lgkmcnt(0)
	global_atomic_add v2, v2, v3, s[24:25] glc
.LBB21_3:
	s_or_b64 exec, exec, s[12:13]
	s_waitcnt vmcnt(0)
	v_readfirstlane_b32 s12, v2
	v_add_u32_e32 v1, s12, v1
	v_mov_b32_e32 v2, 0
	ds_write_b32 v2, v1
.LBB21_4:
	s_or_b64 exec, exec, s[10:11]
	v_mov_b32_e32 v1, 0
	s_load_dword s11, s[4:5], 0x8
	s_load_dword s10, s[4:5], 0x70
	s_waitcnt lgkmcnt(0)
	s_barrier
	ds_read_b32 v4, v1
	s_waitcnt lgkmcnt(0)
	s_barrier
	global_load_dwordx2 v[12:13], v1, s[18:19]
	v_mov_b32_e32 v3, s7
	s_add_i32 s5, s11, s2
	s_add_i32 s12, s10, -1
	s_mul_i32 s7, s10, 0x700
	s_add_u32 s10, s2, s7
	v_readfirstlane_b32 s24, v4
	s_addc_u32 s11, s3, 0
	v_mov_b32_e32 v2, s6
	s_cmp_eq_u32 s24, s12
	v_cmp_ge_u64_e32 vcc, s[10:11], v[2:3]
	s_cselect_b64 s[18:19], -1, 0
	s_and_b64 s[12:13], vcc, s[18:19]
	s_xor_b64 s[20:21], s[12:13], -1
	s_mul_i32 s4, s24, 0x700
	s_mov_b64 s[10:11], -1
	s_and_b64 vcc, exec, s[20:21]
	s_cbranch_vccz .LBB21_6
; %bb.5:
	s_add_i32 s10, s4, s5
	v_add_u32_e32 v1, s10, v0
	v_add_u32_e32 v2, 0x100, v1
	v_lshlrev_b32_e32 v8, 2, v0
	v_add_u32_e32 v3, 0x200, v1
	v_add_u32_e32 v4, 0x300, v1
	;; [unrolled: 1-line block ×5, first 2 shown]
	ds_write2st64_b32 v8, v1, v2 offset1:4
	ds_write2st64_b32 v8, v3, v4 offset0:8 offset1:12
	ds_write2st64_b32 v8, v5, v6 offset0:16 offset1:20
	ds_write_b32 v8, v7 offset:6144
	s_waitcnt lgkmcnt(0)
	s_barrier
	s_mov_b64 s[10:11], 0
.LBB21_6:
	s_andn2_b64 vcc, exec, s[10:11]
	s_cbranch_vccnz .LBB21_8
; %bb.7:
	s_add_i32 s5, s4, s5
	v_add_u32_e32 v1, s5, v0
	v_add_u32_e32 v2, 0x100, v1
	v_lshlrev_b32_e32 v8, 2, v0
	v_add_u32_e32 v3, 0x200, v1
	v_add_u32_e32 v4, 0x300, v1
	;; [unrolled: 1-line block ×5, first 2 shown]
	ds_write2st64_b32 v8, v1, v2 offset1:4
	ds_write2st64_b32 v8, v3, v4 offset0:8 offset1:12
	ds_write2st64_b32 v8, v5, v6 offset0:16 offset1:20
	ds_write_b32 v8, v7 offset:6144
	s_waitcnt lgkmcnt(0)
	s_barrier
.LBB21_8:
	v_mul_u32_u24_e32 v1, 7, v0
	v_lshlrev_b32_e32 v1, 2, v1
	ds_read2_b32 v[16:17], v1 offset1:1
	ds_read2_b32 v[14:15], v1 offset0:2 offset1:3
	ds_read2_b32 v[10:11], v1 offset0:4 offset1:5
	ds_read_b32 v19, v1 offset:24
	s_lshl_b64 s[10:11], s[2:3], 2
	s_add_u32 s3, s8, s10
	s_mov_b32 s5, 0
	s_addc_u32 s8, s9, s11
	s_lshl_b64 s[4:5], s[4:5], 2
	s_add_u32 s4, s3, s4
	s_addc_u32 s5, s8, s5
	s_mov_b64 s[8:9], -1
	s_and_b64 vcc, exec, s[20:21]
	s_waitcnt lgkmcnt(0)
	s_barrier
	s_cbranch_vccz .LBB21_10
; %bb.9:
	v_lshlrev_b32_e32 v2, 2, v0
	v_mov_b32_e32 v3, s5
	global_load_dword v4, v2, s[4:5]
	global_load_dword v5, v2, s[4:5] offset:1024
	global_load_dword v6, v2, s[4:5] offset:2048
	v_add_co_u32_e32 v7, vcc, s4, v2
	v_addc_co_u32_e32 v3, vcc, 0, v3, vcc
	global_load_dword v8, v2, s[4:5] offset:3072
	s_movk_i32 s3, 0x1000
	v_add_co_u32_e32 v2, vcc, s3, v7
	v_addc_co_u32_e32 v3, vcc, 0, v3, vcc
	global_load_dword v7, v[2:3], off
	global_load_dword v9, v[2:3], off offset:1024
	global_load_dword v18, v[2:3], off offset:2048
	s_mov_b64 s[8:9], 0
	s_waitcnt vmcnt(6)
	v_cmp_ne_u32_e32 vcc, 0, v4
	v_cndmask_b32_e64 v2, 0, 1, vcc
	s_waitcnt vmcnt(5)
	v_cmp_ne_u32_e32 vcc, 0, v5
	v_cndmask_b32_e64 v3, 0, 1, vcc
	;; [unrolled: 3-line block ×4, first 2 shown]
	ds_write_b8 v0, v2
	ds_write_b8 v0, v3 offset:256
	ds_write_b8 v0, v4 offset:512
	ds_write_b8 v0, v5 offset:768
	s_waitcnt vmcnt(2)
	v_cmp_ne_u32_e32 vcc, 0, v7
	v_cndmask_b32_e64 v2, 0, 1, vcc
	s_waitcnt vmcnt(1)
	v_cmp_ne_u32_e32 vcc, 0, v9
	v_cndmask_b32_e64 v3, 0, 1, vcc
	;; [unrolled: 3-line block ×3, first 2 shown]
	ds_write_b8 v0, v2 offset:1024
	ds_write_b8 v0, v3 offset:1280
	;; [unrolled: 1-line block ×3, first 2 shown]
	s_waitcnt lgkmcnt(0)
	s_barrier
.LBB21_10:
	s_andn2_b64 vcc, exec, s[8:9]
	s_cbranch_vccnz .LBB21_26
; %bb.11:
	s_add_i32 s7, s7, s2
	s_sub_i32 s6, s6, s7
	s_addk_i32 s6, 0x700
	v_cmp_gt_u32_e32 vcc, s6, v0
	v_mov_b32_e32 v2, 0
	v_mov_b32_e32 v3, 0
	s_and_saveexec_b64 s[2:3], vcc
	s_cbranch_execz .LBB21_13
; %bb.12:
	v_lshlrev_b32_e32 v3, 2, v0
	global_load_dword v3, v3, s[4:5]
	s_waitcnt vmcnt(0)
	v_cmp_ne_u32_e32 vcc, 0, v3
	v_cndmask_b32_e64 v3, 0, 1, vcc
.LBB21_13:
	s_or_b64 exec, exec, s[2:3]
	v_or_b32_e32 v4, 0x100, v0
	v_cmp_gt_u32_e32 vcc, s6, v4
	s_and_saveexec_b64 s[2:3], vcc
	s_cbranch_execz .LBB21_15
; %bb.14:
	v_lshlrev_b32_e32 v2, 2, v0
	global_load_dword v2, v2, s[4:5] offset:1024
	s_waitcnt vmcnt(0)
	v_cmp_ne_u32_e32 vcc, 0, v2
	v_cndmask_b32_e64 v2, 0, 1, vcc
.LBB21_15:
	s_or_b64 exec, exec, s[2:3]
	v_or_b32_e32 v4, 0x200, v0
	v_cmp_gt_u32_e32 vcc, s6, v4
	v_mov_b32_e32 v4, 0
	v_mov_b32_e32 v5, 0
	s_and_saveexec_b64 s[2:3], vcc
	s_cbranch_execz .LBB21_17
; %bb.16:
	v_lshlrev_b32_e32 v5, 2, v0
	global_load_dword v5, v5, s[4:5] offset:2048
	s_waitcnt vmcnt(0)
	v_cmp_ne_u32_e32 vcc, 0, v5
	v_cndmask_b32_e64 v5, 0, 1, vcc
.LBB21_17:
	s_or_b64 exec, exec, s[2:3]
	v_or_b32_e32 v6, 0x300, v0
	v_cmp_gt_u32_e32 vcc, s6, v6
	s_and_saveexec_b64 s[2:3], vcc
	s_cbranch_execz .LBB21_19
; %bb.18:
	v_lshlrev_b32_e32 v4, 2, v0
	global_load_dword v4, v4, s[4:5] offset:3072
	s_waitcnt vmcnt(0)
	v_cmp_ne_u32_e32 vcc, 0, v4
	v_cndmask_b32_e64 v4, 0, 1, vcc
.LBB21_19:
	s_or_b64 exec, exec, s[2:3]
	v_or_b32_e32 v8, 0x400, v0
	v_cmp_gt_u32_e32 vcc, s6, v8
	v_mov_b32_e32 v6, 0
	v_mov_b32_e32 v7, 0
	s_and_saveexec_b64 s[2:3], vcc
	s_cbranch_execz .LBB21_21
; %bb.20:
	v_lshlrev_b32_e32 v7, 2, v8
	global_load_dword v7, v7, s[4:5]
	s_waitcnt vmcnt(0)
	v_cmp_ne_u32_e32 vcc, 0, v7
	v_cndmask_b32_e64 v7, 0, 1, vcc
.LBB21_21:
	s_or_b64 exec, exec, s[2:3]
	v_or_b32_e32 v8, 0x500, v0
	v_cmp_gt_u32_e32 vcc, s6, v8
	s_and_saveexec_b64 s[2:3], vcc
	s_cbranch_execz .LBB21_23
; %bb.22:
	v_lshlrev_b32_e32 v6, 2, v8
	global_load_dword v6, v6, s[4:5]
	s_waitcnt vmcnt(0)
	v_cmp_ne_u32_e32 vcc, 0, v6
	v_cndmask_b32_e64 v6, 0, 1, vcc
.LBB21_23:
	s_or_b64 exec, exec, s[2:3]
	v_or_b32_e32 v9, 0x600, v0
	v_cmp_gt_u32_e32 vcc, s6, v9
	v_mov_b32_e32 v8, 0
	s_and_saveexec_b64 s[2:3], vcc
	s_cbranch_execz .LBB21_25
; %bb.24:
	v_lshlrev_b32_e32 v8, 2, v9
	global_load_dword v8, v8, s[4:5]
	s_waitcnt vmcnt(0)
	v_cmp_ne_u32_e32 vcc, 0, v8
	v_cndmask_b32_e64 v8, 0, 1, vcc
.LBB21_25:
	s_or_b64 exec, exec, s[2:3]
	ds_write_b8 v0, v3
	ds_write_b8 v0, v2 offset:256
	ds_write_b8 v0, v5 offset:512
	;; [unrolled: 1-line block ×6, first 2 shown]
	s_waitcnt lgkmcnt(0)
	s_barrier
.LBB21_26:
	s_movk_i32 s2, 0xffeb
	v_mad_i32_i24 v25, v0, s2, v1
	ds_read_u8 v1, v25
	ds_read_u8 v2, v25 offset:1
	ds_read_u8 v3, v25 offset:2
	;; [unrolled: 1-line block ×6, first 2 shown]
	s_waitcnt lgkmcnt(6)
	v_and_b32_e32 v28, 1, v1
	s_waitcnt lgkmcnt(5)
	v_and_b32_e32 v26, 1, v2
	;; [unrolled: 2-line block ×3, first 2 shown]
	v_add_co_u32_e32 v2, vcc, v26, v28
	v_addc_co_u32_e64 v3, s[2:3], 0, 0, vcc
	v_add_co_u32_e32 v2, vcc, v2, v24
	s_waitcnt lgkmcnt(3)
	v_and_b32_e32 v22, 1, v4
	v_addc_co_u32_e32 v3, vcc, 0, v3, vcc
	v_add_co_u32_e32 v2, vcc, v2, v22
	s_waitcnt lgkmcnt(2)
	v_and_b32_e32 v20, 1, v5
	v_addc_co_u32_e32 v3, vcc, 0, v3, vcc
	;; [unrolled: 4-line block ×4, first 2 shown]
	v_add_co_u32_e32 v30, vcc, v2, v21
	v_mbcnt_lo_u32_b32 v2, -1, 0
	v_mbcnt_hi_u32_b32 v23, -1, v2
	v_addc_co_u32_e32 v31, vcc, 0, v3, vcc
	v_and_b32_e32 v29, 15, v23
	s_cmp_lg_u32 s24, 0
	v_mov_b32_e32 v1, 0
	v_cmp_eq_u32_e64 s[4:5], 0, v29
	v_cmp_lt_u32_e64 s[2:3], 1, v29
	v_cmp_lt_u32_e64 s[10:11], 3, v29
	;; [unrolled: 1-line block ×3, first 2 shown]
	v_and_b32_e32 v27, 16, v23
	v_cmp_eq_u32_e64 s[6:7], 0, v23
	v_cmp_ne_u32_e32 vcc, 0, v23
	s_barrier
	s_cbranch_scc0 .LBB21_59
; %bb.27:
	v_mov_b32_dpp v2, v30 row_shr:1 row_mask:0xf bank_mask:0xf
	v_add_co_u32_e64 v2, s[12:13], v30, v2
	v_addc_co_u32_e64 v3, s[12:13], 0, v31, s[12:13]
	v_mov_b32_dpp v1, v1 row_shr:1 row_mask:0xf bank_mask:0xf
	v_add_co_u32_e64 v4, s[12:13], 0, v2
	v_addc_co_u32_e64 v1, s[12:13], v1, v3, s[12:13]
	v_cndmask_b32_e64 v2, v2, v30, s[4:5]
	v_cndmask_b32_e64 v3, v1, 0, s[4:5]
	v_cndmask_b32_e64 v4, v4, v30, s[4:5]
	v_mov_b32_dpp v5, v2 row_shr:2 row_mask:0xf bank_mask:0xf
	v_cndmask_b32_e64 v1, v1, v31, s[4:5]
	v_mov_b32_dpp v6, v3 row_shr:2 row_mask:0xf bank_mask:0xf
	v_add_co_u32_e64 v5, s[12:13], v5, v4
	v_addc_co_u32_e64 v6, s[12:13], v6, v1, s[12:13]
	v_cndmask_b32_e64 v2, v2, v5, s[2:3]
	v_cndmask_b32_e64 v3, v3, v6, s[2:3]
	v_cndmask_b32_e64 v4, v4, v5, s[2:3]
	v_mov_b32_dpp v5, v2 row_shr:4 row_mask:0xf bank_mask:0xf
	v_cndmask_b32_e64 v1, v1, v6, s[2:3]
	;; [unrolled: 8-line block ×3, first 2 shown]
	v_mov_b32_dpp v6, v3 row_shr:8 row_mask:0xf bank_mask:0xf
	v_add_co_u32_e64 v5, s[10:11], v5, v4
	v_addc_co_u32_e64 v6, s[10:11], v6, v1, s[10:11]
	v_cndmask_b32_e64 v2, v2, v5, s[8:9]
	v_cndmask_b32_e64 v3, v3, v6, s[8:9]
	;; [unrolled: 1-line block ×3, first 2 shown]
	v_mov_b32_dpp v5, v2 row_bcast:15 row_mask:0xf bank_mask:0xf
	v_cndmask_b32_e64 v1, v1, v6, s[8:9]
	v_mov_b32_dpp v6, v3 row_bcast:15 row_mask:0xf bank_mask:0xf
	v_add_co_u32_e64 v5, s[8:9], v5, v4
	v_addc_co_u32_e64 v7, s[8:9], v6, v1, s[8:9]
	v_cmp_eq_u32_e64 s[8:9], 0, v27
	v_cndmask_b32_e64 v3, v7, v3, s[8:9]
	v_cndmask_b32_e64 v2, v5, v2, s[8:9]
	s_nop 0
	v_mov_b32_dpp v8, v3 row_bcast:31 row_mask:0xf bank_mask:0xf
	v_mov_b32_dpp v6, v2 row_bcast:31 row_mask:0xf bank_mask:0xf
	v_pk_mov_b32 v[2:3], v[30:31], v[30:31] op_sel:[0,1]
	s_and_saveexec_b64 s[10:11], vcc
; %bb.28:
	v_cmp_lt_u32_e32 vcc, 31, v23
	v_cndmask_b32_e64 v2, v5, v4, s[8:9]
	v_cndmask_b32_e32 v4, 0, v6, vcc
	v_cndmask_b32_e64 v1, v7, v1, s[8:9]
	v_cndmask_b32_e32 v3, 0, v8, vcc
	v_add_co_u32_e32 v2, vcc, v4, v2
	v_addc_co_u32_e32 v3, vcc, v3, v1, vcc
; %bb.29:
	s_or_b64 exec, exec, s[10:11]
	v_or_b32_e32 v4, 63, v0
	v_lshrrev_b32_e32 v1, 6, v0
	v_cmp_eq_u32_e32 vcc, v4, v0
	s_and_saveexec_b64 s[8:9], vcc
	s_cbranch_execz .LBB21_31
; %bb.30:
	v_lshlrev_b32_e32 v4, 3, v1
	ds_write_b64 v4, v[2:3]
.LBB21_31:
	s_or_b64 exec, exec, s[8:9]
	v_cmp_gt_u32_e32 vcc, 4, v0
	s_waitcnt lgkmcnt(0)
	s_barrier
	s_and_saveexec_b64 s[10:11], vcc
	s_cbranch_execz .LBB21_33
; %bb.32:
	v_lshlrev_b32_e32 v6, 3, v0
	ds_read_b64 v[4:5], v6
	v_and_b32_e32 v7, 3, v23
	v_cmp_ne_u32_e64 s[8:9], 1, v7
	s_waitcnt lgkmcnt(0)
	v_mov_b32_dpp v8, v4 row_shr:1 row_mask:0xf bank_mask:0xf
	v_add_co_u32_e32 v8, vcc, v4, v8
	v_addc_co_u32_e32 v32, vcc, 0, v5, vcc
	v_mov_b32_dpp v9, v5 row_shr:1 row_mask:0xf bank_mask:0xf
	v_add_co_u32_e32 v33, vcc, 0, v8
	v_addc_co_u32_e32 v9, vcc, v9, v32, vcc
	v_cmp_eq_u32_e32 vcc, 0, v7
	v_cndmask_b32_e32 v8, v8, v4, vcc
	v_cndmask_b32_e32 v32, v9, v5, vcc
	s_nop 0
	v_mov_b32_dpp v8, v8 row_shr:2 row_mask:0xf bank_mask:0xf
	v_mov_b32_dpp v32, v32 row_shr:2 row_mask:0xf bank_mask:0xf
	v_cndmask_b32_e64 v7, 0, v8, s[8:9]
	v_cndmask_b32_e64 v8, 0, v32, s[8:9]
	v_add_co_u32_e64 v7, s[8:9], v7, v33
	v_addc_co_u32_e64 v8, s[8:9], v8, v9, s[8:9]
	v_cndmask_b32_e32 v5, v8, v5, vcc
	v_cndmask_b32_e32 v4, v7, v4, vcc
	ds_write_b64 v6, v[4:5]
.LBB21_33:
	s_or_b64 exec, exec, s[10:11]
	v_cmp_gt_u32_e32 vcc, 64, v0
	v_cmp_lt_u32_e64 s[8:9], 63, v0
	s_waitcnt lgkmcnt(0)
	s_barrier
	s_waitcnt lgkmcnt(0)
                                        ; implicit-def: $vgpr32_vgpr33
	s_and_saveexec_b64 s[10:11], s[8:9]
	s_cbranch_execz .LBB21_35
; %bb.34:
	v_lshl_add_u32 v1, v1, 3, -8
	ds_read_b64 v[32:33], v1
	s_waitcnt lgkmcnt(0)
	v_add_co_u32_e64 v2, s[8:9], v32, v2
	v_addc_co_u32_e64 v3, s[8:9], v33, v3, s[8:9]
.LBB21_35:
	s_or_b64 exec, exec, s[10:11]
	v_add_u32_e32 v1, -1, v23
	v_and_b32_e32 v4, 64, v23
	v_cmp_lt_i32_e64 s[8:9], v1, v4
	v_cndmask_b32_e64 v1, v1, v23, s[8:9]
	v_lshlrev_b32_e32 v1, 2, v1
	ds_bpermute_b32 v40, v1, v2
	ds_bpermute_b32 v1, v1, v3
	s_and_saveexec_b64 s[12:13], vcc
	s_cbranch_execz .LBB21_58
; %bb.36:
	v_mov_b32_e32 v5, 0
	ds_read_b64 v[2:3], v5 offset:24
	s_and_saveexec_b64 s[8:9], s[6:7]
	s_cbranch_execz .LBB21_38
; %bb.37:
	s_add_i32 s10, s24, 64
	s_mov_b32 s11, 0
	s_lshl_b64 s[10:11], s[10:11], 4
	s_add_u32 s10, s22, s10
	s_addc_u32 s11, s23, s11
	v_mov_b32_e32 v4, 1
	v_pk_mov_b32 v[6:7], s[10:11], s[10:11] op_sel:[0,1]
	s_waitcnt lgkmcnt(0)
	;;#ASMSTART
	global_store_dwordx4 v[6:7], v[2:5] off	
s_waitcnt vmcnt(0)
	;;#ASMEND
.LBB21_38:
	s_or_b64 exec, exec, s[8:9]
	v_xad_u32 v34, v23, -1, s24
	v_add_u32_e32 v4, 64, v34
	v_lshlrev_b64 v[6:7], 4, v[4:5]
	v_mov_b32_e32 v4, s23
	v_add_co_u32_e32 v36, vcc, s22, v6
	v_addc_co_u32_e32 v37, vcc, v4, v7, vcc
	;;#ASMSTART
	global_load_dwordx4 v[6:9], v[36:37] off glc	
s_waitcnt vmcnt(0)
	;;#ASMEND
	v_and_b32_e32 v4, 0xff, v7
	v_and_b32_e32 v9, 0xff00, v7
	;; [unrolled: 1-line block ×3, first 2 shown]
	v_or3_b32 v4, 0, v4, v9
	v_or3_b32 v6, v6, 0, 0
	v_and_b32_e32 v7, 0xff000000, v7
	v_or3_b32 v7, v4, v35, v7
	v_or3_b32 v6, v6, 0, 0
	v_cmp_eq_u16_sdwa s[10:11], v8, v5 src0_sel:BYTE_0 src1_sel:DWORD
	s_and_saveexec_b64 s[8:9], s[10:11]
	s_cbranch_execz .LBB21_44
; %bb.39:
	s_mov_b32 s25, 1
	s_mov_b64 s[10:11], 0
	v_mov_b32_e32 v4, 0
.LBB21_40:                              ; =>This Loop Header: Depth=1
                                        ;     Child Loop BB21_41 Depth 2
	s_max_u32 s26, s25, 1
.LBB21_41:                              ;   Parent Loop BB21_40 Depth=1
                                        ; =>  This Inner Loop Header: Depth=2
	s_add_i32 s26, s26, -1
	s_cmp_eq_u32 s26, 0
	s_sleep 1
	s_cbranch_scc0 .LBB21_41
; %bb.42:                               ;   in Loop: Header=BB21_40 Depth=1
	s_cmp_lt_u32 s25, 32
	s_cselect_b64 s[26:27], -1, 0
	s_cmp_lg_u64 s[26:27], 0
	s_addc_u32 s25, s25, 0
	;;#ASMSTART
	global_load_dwordx4 v[6:9], v[36:37] off glc	
s_waitcnt vmcnt(0)
	;;#ASMEND
	v_cmp_ne_u16_sdwa s[26:27], v8, v4 src0_sel:BYTE_0 src1_sel:DWORD
	s_or_b64 s[10:11], s[26:27], s[10:11]
	s_andn2_b64 exec, exec, s[10:11]
	s_cbranch_execnz .LBB21_40
; %bb.43:
	s_or_b64 exec, exec, s[10:11]
.LBB21_44:
	s_or_b64 exec, exec, s[8:9]
	v_and_b32_e32 v42, 63, v23
	v_mov_b32_e32 v41, 2
	v_cmp_ne_u32_e32 vcc, 63, v42
	v_cmp_eq_u16_sdwa s[8:9], v8, v41 src0_sel:BYTE_0 src1_sel:DWORD
	v_lshlrev_b64 v[36:37], v23, -1
	v_addc_co_u32_e32 v9, vcc, 0, v23, vcc
	v_and_b32_e32 v4, s9, v37
	v_lshlrev_b32_e32 v43, 2, v9
	v_or_b32_e32 v4, 0x80000000, v4
	ds_bpermute_b32 v9, v43, v6
	v_and_b32_e32 v5, s8, v36
	v_ffbl_b32_e32 v4, v4
	v_add_u32_e32 v4, 32, v4
	v_ffbl_b32_e32 v5, v5
	v_min_u32_e32 v4, v5, v4
	ds_bpermute_b32 v5, v43, v7
	s_waitcnt lgkmcnt(1)
	v_add_co_u32_e32 v9, vcc, v6, v9
	v_addc_co_u32_e32 v38, vcc, 0, v7, vcc
	v_add_co_u32_e32 v39, vcc, 0, v9
	v_cmp_gt_u32_e64 s[8:9], 62, v42
	s_waitcnt lgkmcnt(0)
	v_addc_co_u32_e32 v5, vcc, v5, v38, vcc
	v_cndmask_b32_e64 v38, 0, 1, s[8:9]
	v_cmp_lt_u32_e32 vcc, v42, v4
	v_lshlrev_b32_e32 v38, 1, v38
	v_cndmask_b32_e32 v9, v6, v9, vcc
	v_add_lshl_u32 v44, v38, v23, 2
	v_cndmask_b32_e32 v5, v7, v5, vcc
	ds_bpermute_b32 v38, v44, v9
	ds_bpermute_b32 v46, v44, v5
	v_cndmask_b32_e32 v39, v6, v39, vcc
	v_add_u32_e32 v45, 2, v42
	v_cmp_gt_u32_e64 s[10:11], 60, v42
	s_waitcnt lgkmcnt(1)
	v_add_co_u32_e64 v38, s[8:9], v38, v39
	s_waitcnt lgkmcnt(0)
	v_addc_co_u32_e64 v46, s[8:9], v46, v5, s[8:9]
	v_cmp_gt_u32_e64 s[8:9], v45, v4
	v_cndmask_b32_e64 v5, v46, v5, s[8:9]
	v_cndmask_b32_e64 v46, 0, 1, s[10:11]
	v_lshlrev_b32_e32 v46, 2, v46
	v_cndmask_b32_e64 v9, v38, v9, s[8:9]
	v_add_lshl_u32 v46, v46, v23, 2
	ds_bpermute_b32 v48, v46, v9
	v_cndmask_b32_e64 v38, v38, v39, s[8:9]
	ds_bpermute_b32 v39, v46, v5
	v_add_u32_e32 v47, 4, v42
	v_cmp_gt_u32_e64 s[10:11], 56, v42
	s_waitcnt lgkmcnt(1)
	v_add_co_u32_e64 v49, s[8:9], v48, v38
	s_waitcnt lgkmcnt(0)
	v_addc_co_u32_e64 v39, s[8:9], v39, v5, s[8:9]
	v_cmp_gt_u32_e64 s[8:9], v47, v4
	v_cndmask_b32_e64 v5, v39, v5, s[8:9]
	v_cndmask_b32_e64 v39, 0, 1, s[10:11]
	v_lshlrev_b32_e32 v39, 3, v39
	v_cndmask_b32_e64 v9, v49, v9, s[8:9]
	v_add_lshl_u32 v48, v39, v23, 2
	ds_bpermute_b32 v39, v48, v9
	ds_bpermute_b32 v50, v48, v5
	v_cndmask_b32_e64 v38, v49, v38, s[8:9]
	v_add_u32_e32 v49, 8, v42
	v_cmp_gt_u32_e64 s[10:11], 48, v42
	s_waitcnt lgkmcnt(1)
	v_add_co_u32_e64 v39, s[8:9], v39, v38
	s_waitcnt lgkmcnt(0)
	v_addc_co_u32_e64 v50, s[8:9], v50, v5, s[8:9]
	v_cmp_gt_u32_e64 s[8:9], v49, v4
	v_cndmask_b32_e64 v5, v50, v5, s[8:9]
	v_cndmask_b32_e64 v50, 0, 1, s[10:11]
	v_lshlrev_b32_e32 v50, 4, v50
	v_cndmask_b32_e64 v9, v39, v9, s[8:9]
	v_add_lshl_u32 v50, v50, v23, 2
	ds_bpermute_b32 v52, v50, v9
	v_cndmask_b32_e64 v38, v39, v38, s[8:9]
	ds_bpermute_b32 v39, v50, v5
	v_cmp_gt_u32_e64 s[10:11], 32, v42
	v_add_u32_e32 v51, 16, v42
	s_waitcnt lgkmcnt(1)
	v_add_co_u32_e64 v54, s[8:9], v52, v38
	s_waitcnt lgkmcnt(0)
	v_addc_co_u32_e64 v39, s[8:9], v39, v5, s[8:9]
	v_cndmask_b32_e64 v52, 0, 1, s[10:11]
	v_cmp_gt_u32_e64 s[8:9], v51, v4
	v_lshlrev_b32_e32 v52, 5, v52
	v_cndmask_b32_e64 v9, v54, v9, s[8:9]
	v_add_lshl_u32 v52, v52, v23, 2
	v_cndmask_b32_e64 v5, v39, v5, s[8:9]
	ds_bpermute_b32 v9, v52, v9
	ds_bpermute_b32 v39, v52, v5
	v_add_u32_e32 v53, 32, v42
	v_cndmask_b32_e64 v38, v54, v38, s[8:9]
	v_cmp_le_u32_e64 s[8:9], v53, v4
	s_waitcnt lgkmcnt(1)
	v_cndmask_b32_e64 v9, 0, v9, s[8:9]
	s_waitcnt lgkmcnt(0)
	v_cndmask_b32_e64 v4, 0, v39, s[8:9]
	v_add_co_u32_e64 v9, s[8:9], v9, v38
	v_addc_co_u32_e64 v4, s[8:9], v4, v5, s[8:9]
	v_mov_b32_e32 v35, 0
	v_cndmask_b32_e32 v7, v7, v4, vcc
	v_cndmask_b32_e32 v6, v6, v9, vcc
	s_branch .LBB21_46
.LBB21_45:                              ;   in Loop: Header=BB21_46 Depth=1
	s_or_b64 exec, exec, s[8:9]
	v_cmp_eq_u16_sdwa s[8:9], v8, v41 src0_sel:BYTE_0 src1_sel:DWORD
	v_and_b32_e32 v9, s9, v37
	v_or_b32_e32 v9, 0x80000000, v9
	ds_bpermute_b32 v39, v43, v6
	v_and_b32_e32 v38, s8, v36
	v_ffbl_b32_e32 v9, v9
	v_add_u32_e32 v9, 32, v9
	v_ffbl_b32_e32 v38, v38
	v_min_u32_e32 v9, v38, v9
	ds_bpermute_b32 v38, v43, v7
	s_waitcnt lgkmcnt(1)
	v_add_co_u32_e32 v39, vcc, v6, v39
	v_addc_co_u32_e32 v54, vcc, 0, v7, vcc
	v_add_co_u32_e32 v55, vcc, 0, v39
	s_waitcnt lgkmcnt(0)
	v_addc_co_u32_e32 v38, vcc, v38, v54, vcc
	v_cmp_lt_u32_e32 vcc, v42, v9
	v_cndmask_b32_e32 v39, v6, v39, vcc
	ds_bpermute_b32 v54, v44, v39
	v_cndmask_b32_e32 v38, v7, v38, vcc
	ds_bpermute_b32 v56, v44, v38
	v_cndmask_b32_e32 v55, v6, v55, vcc
	v_subrev_u32_e32 v34, 64, v34
	s_waitcnt lgkmcnt(1)
	v_add_co_u32_e64 v54, s[8:9], v54, v55
	s_waitcnt lgkmcnt(0)
	v_addc_co_u32_e64 v56, s[8:9], v56, v38, s[8:9]
	v_cmp_gt_u32_e64 s[8:9], v45, v9
	v_cndmask_b32_e64 v39, v54, v39, s[8:9]
	ds_bpermute_b32 v57, v46, v39
	v_cndmask_b32_e64 v38, v56, v38, s[8:9]
	ds_bpermute_b32 v56, v46, v38
	v_cndmask_b32_e64 v54, v54, v55, s[8:9]
	s_waitcnt lgkmcnt(1)
	v_add_co_u32_e64 v55, s[8:9], v57, v54
	s_waitcnt lgkmcnt(0)
	v_addc_co_u32_e64 v56, s[8:9], v56, v38, s[8:9]
	v_cmp_gt_u32_e64 s[8:9], v47, v9
	v_cndmask_b32_e64 v39, v55, v39, s[8:9]
	ds_bpermute_b32 v57, v48, v39
	v_cndmask_b32_e64 v38, v56, v38, s[8:9]
	ds_bpermute_b32 v56, v48, v38
	v_cndmask_b32_e64 v54, v55, v54, s[8:9]
	;; [unrolled: 10-line block ×3, first 2 shown]
	s_waitcnt lgkmcnt(1)
	v_add_co_u32_e64 v55, s[8:9], v57, v54
	s_waitcnt lgkmcnt(0)
	v_addc_co_u32_e64 v56, s[8:9], v56, v38, s[8:9]
	v_cmp_gt_u32_e64 s[8:9], v51, v9
	v_cndmask_b32_e64 v39, v55, v39, s[8:9]
	v_cndmask_b32_e64 v38, v56, v38, s[8:9]
	ds_bpermute_b32 v39, v52, v39
	ds_bpermute_b32 v56, v52, v38
	v_cndmask_b32_e64 v54, v55, v54, s[8:9]
	v_cmp_le_u32_e64 s[8:9], v53, v9
	s_waitcnt lgkmcnt(1)
	v_cndmask_b32_e64 v39, 0, v39, s[8:9]
	s_waitcnt lgkmcnt(0)
	v_cndmask_b32_e64 v9, 0, v56, s[8:9]
	v_add_co_u32_e64 v39, s[8:9], v39, v54
	v_addc_co_u32_e64 v9, s[8:9], v9, v38, s[8:9]
	v_cndmask_b32_e32 v6, v6, v39, vcc
	v_cndmask_b32_e32 v7, v7, v9, vcc
	v_add_co_u32_e32 v6, vcc, v6, v4
	v_addc_co_u32_e32 v7, vcc, v7, v5, vcc
.LBB21_46:                              ; =>This Loop Header: Depth=1
                                        ;     Child Loop BB21_49 Depth 2
                                        ;       Child Loop BB21_50 Depth 3
	v_cmp_ne_u16_sdwa s[8:9], v8, v41 src0_sel:BYTE_0 src1_sel:DWORD
	v_cndmask_b32_e64 v4, 0, 1, s[8:9]
	;;#ASMSTART
	;;#ASMEND
	v_cmp_ne_u32_e32 vcc, 0, v4
	s_cmp_lg_u64 vcc, exec
	v_pk_mov_b32 v[4:5], v[6:7], v[6:7] op_sel:[0,1]
	s_cbranch_scc1 .LBB21_53
; %bb.47:                               ;   in Loop: Header=BB21_46 Depth=1
	v_lshlrev_b64 v[6:7], 4, v[34:35]
	v_mov_b32_e32 v8, s23
	v_add_co_u32_e32 v38, vcc, s22, v6
	v_addc_co_u32_e32 v39, vcc, v8, v7, vcc
	;;#ASMSTART
	global_load_dwordx4 v[6:9], v[38:39] off glc	
s_waitcnt vmcnt(0)
	;;#ASMEND
	v_and_b32_e32 v9, 0xff, v7
	v_and_b32_e32 v54, 0xff00, v7
	;; [unrolled: 1-line block ×3, first 2 shown]
	v_or3_b32 v9, 0, v9, v54
	v_or3_b32 v6, v6, 0, 0
	v_and_b32_e32 v7, 0xff000000, v7
	v_or3_b32 v7, v9, v55, v7
	v_or3_b32 v6, v6, 0, 0
	v_cmp_eq_u16_sdwa s[10:11], v8, v35 src0_sel:BYTE_0 src1_sel:DWORD
	s_and_saveexec_b64 s[8:9], s[10:11]
	s_cbranch_execz .LBB21_45
; %bb.48:                               ;   in Loop: Header=BB21_46 Depth=1
	s_mov_b32 s25, 1
	s_mov_b64 s[10:11], 0
.LBB21_49:                              ;   Parent Loop BB21_46 Depth=1
                                        ; =>  This Loop Header: Depth=2
                                        ;       Child Loop BB21_50 Depth 3
	s_max_u32 s26, s25, 1
.LBB21_50:                              ;   Parent Loop BB21_46 Depth=1
                                        ;     Parent Loop BB21_49 Depth=2
                                        ; =>    This Inner Loop Header: Depth=3
	s_add_i32 s26, s26, -1
	s_cmp_eq_u32 s26, 0
	s_sleep 1
	s_cbranch_scc0 .LBB21_50
; %bb.51:                               ;   in Loop: Header=BB21_49 Depth=2
	s_cmp_lt_u32 s25, 32
	s_cselect_b64 s[26:27], -1, 0
	s_cmp_lg_u64 s[26:27], 0
	s_addc_u32 s25, s25, 0
	;;#ASMSTART
	global_load_dwordx4 v[6:9], v[38:39] off glc	
s_waitcnt vmcnt(0)
	;;#ASMEND
	v_cmp_ne_u16_sdwa s[26:27], v8, v35 src0_sel:BYTE_0 src1_sel:DWORD
	s_or_b64 s[10:11], s[26:27], s[10:11]
	s_andn2_b64 exec, exec, s[10:11]
	s_cbranch_execnz .LBB21_49
; %bb.52:                               ;   in Loop: Header=BB21_46 Depth=1
	s_or_b64 exec, exec, s[10:11]
	s_branch .LBB21_45
.LBB21_53:                              ;   in Loop: Header=BB21_46 Depth=1
                                        ; implicit-def: $vgpr6_vgpr7
                                        ; implicit-def: $vgpr8
	s_cbranch_execz .LBB21_46
; %bb.54:
	s_and_saveexec_b64 s[8:9], s[6:7]
	s_cbranch_execz .LBB21_56
; %bb.55:
	s_add_i32 s10, s24, 64
	s_mov_b32 s11, 0
	s_lshl_b64 s[10:11], s[10:11], 4
	s_add_u32 s10, s22, s10
	v_add_co_u32_e32 v6, vcc, v4, v2
	s_addc_u32 s11, s23, s11
	v_addc_co_u32_e32 v7, vcc, v5, v3, vcc
	v_mov_b32_e32 v8, 2
	v_mov_b32_e32 v9, 0
	v_pk_mov_b32 v[34:35], s[10:11], s[10:11] op_sel:[0,1]
	;;#ASMSTART
	global_store_dwordx4 v[34:35], v[6:9] off	
s_waitcnt vmcnt(0)
	;;#ASMEND
	ds_write_b128 v9, v[2:5] offset:7168
.LBB21_56:
	s_or_b64 exec, exec, s[8:9]
	s_and_b64 exec, exec, s[0:1]
	s_cbranch_execz .LBB21_58
; %bb.57:
	v_mov_b32_e32 v2, 0
	ds_write_b64 v2, v[4:5] offset:24
.LBB21_58:
	s_or_b64 exec, exec, s[12:13]
	v_mov_b32_e32 v5, 0
	s_waitcnt lgkmcnt(0)
	s_barrier
	ds_read_b64 v[2:3], v5 offset:24
	v_cndmask_b32_e64 v4, v40, v32, s[6:7]
	v_cndmask_b32_e64 v1, v1, v33, s[6:7]
	;; [unrolled: 1-line block ×4, first 2 shown]
	s_waitcnt lgkmcnt(0)
	v_add_co_u32_e32 v40, vcc, v2, v4
	v_addc_co_u32_e32 v41, vcc, v3, v1, vcc
	v_add_co_u32_e32 v38, vcc, v40, v28
	v_addc_co_u32_e32 v39, vcc, 0, v41, vcc
	;; [unrolled: 2-line block ×5, first 2 shown]
	s_barrier
	ds_read_b128 v[4:7], v5 offset:7168
	v_add_co_u32_e32 v2, vcc, v32, v20
	v_addc_co_u32_e32 v3, vcc, 0, v33, vcc
	v_add_co_u32_e32 v8, vcc, v2, v18
	v_addc_co_u32_e32 v9, vcc, 0, v3, vcc
	s_branch .LBB21_71
.LBB21_59:
                                        ; implicit-def: $vgpr6_vgpr7
                                        ; implicit-def: $vgpr8_vgpr9
                                        ; implicit-def: $vgpr2_vgpr3
                                        ; implicit-def: $vgpr32_vgpr33
                                        ; implicit-def: $vgpr34_vgpr35
                                        ; implicit-def: $vgpr36_vgpr37
                                        ; implicit-def: $vgpr38_vgpr39
                                        ; implicit-def: $vgpr40_vgpr41
	s_cbranch_execz .LBB21_71
; %bb.60:
	v_mov_b32_dpp v1, v30 row_shr:1 row_mask:0xf bank_mask:0xf
	v_add_co_u32_e32 v1, vcc, v30, v1
	v_mov_b32_e32 v2, 0
	v_addc_co_u32_e32 v3, vcc, 0, v31, vcc
	s_nop 0
	v_mov_b32_dpp v2, v2 row_shr:1 row_mask:0xf bank_mask:0xf
	s_waitcnt lgkmcnt(0)
	v_add_co_u32_e32 v4, vcc, 0, v1
	v_addc_co_u32_e32 v2, vcc, v2, v3, vcc
	v_cndmask_b32_e64 v1, v1, v30, s[4:5]
	v_cndmask_b32_e64 v3, v2, 0, s[4:5]
	;; [unrolled: 1-line block ×3, first 2 shown]
	v_mov_b32_dpp v5, v1 row_shr:2 row_mask:0xf bank_mask:0xf
	v_cndmask_b32_e64 v2, v2, v31, s[4:5]
	v_mov_b32_dpp v6, v3 row_shr:2 row_mask:0xf bank_mask:0xf
	v_add_co_u32_e32 v5, vcc, v5, v4
	v_addc_co_u32_e32 v6, vcc, v6, v2, vcc
	v_cndmask_b32_e64 v1, v1, v5, s[2:3]
	v_cndmask_b32_e64 v3, v3, v6, s[2:3]
	;; [unrolled: 1-line block ×3, first 2 shown]
	v_mov_b32_dpp v5, v1 row_shr:4 row_mask:0xf bank_mask:0xf
	v_cndmask_b32_e64 v2, v2, v6, s[2:3]
	v_mov_b32_dpp v6, v3 row_shr:4 row_mask:0xf bank_mask:0xf
	v_add_co_u32_e32 v5, vcc, v5, v4
	v_addc_co_u32_e32 v6, vcc, v6, v2, vcc
	v_cmp_lt_u32_e32 vcc, 3, v29
	v_cndmask_b32_e32 v1, v1, v5, vcc
	v_cndmask_b32_e32 v3, v3, v6, vcc
	;; [unrolled: 1-line block ×3, first 2 shown]
	v_mov_b32_dpp v5, v1 row_shr:8 row_mask:0xf bank_mask:0xf
	v_cndmask_b32_e32 v2, v2, v6, vcc
	v_mov_b32_dpp v6, v3 row_shr:8 row_mask:0xf bank_mask:0xf
	v_add_co_u32_e32 v5, vcc, v5, v4
	v_addc_co_u32_e32 v6, vcc, v6, v2, vcc
	v_cmp_lt_u32_e32 vcc, 7, v29
	v_cndmask_b32_e32 v8, v1, v5, vcc
	v_cndmask_b32_e32 v7, v3, v6, vcc
	;; [unrolled: 1-line block ×4, first 2 shown]
	v_mov_b32_dpp v3, v8 row_bcast:15 row_mask:0xf bank_mask:0xf
	v_mov_b32_dpp v4, v7 row_bcast:15 row_mask:0xf bank_mask:0xf
	v_add_co_u32_e32 v3, vcc, v3, v2
	v_addc_co_u32_e32 v5, vcc, v4, v1, vcc
	v_cmp_eq_u32_e64 s[2:3], 0, v27
	v_cndmask_b32_e64 v6, v5, v7, s[2:3]
	v_cndmask_b32_e64 v4, v3, v8, s[2:3]
	v_cmp_eq_u32_e32 vcc, 0, v23
	v_mov_b32_dpp v6, v6 row_bcast:31 row_mask:0xf bank_mask:0xf
	v_mov_b32_dpp v4, v4 row_bcast:31 row_mask:0xf bank_mask:0xf
	v_cmp_ne_u32_e64 s[4:5], 0, v23
	s_and_saveexec_b64 s[6:7], s[4:5]
; %bb.61:
	v_cndmask_b32_e64 v1, v5, v1, s[2:3]
	v_cndmask_b32_e64 v2, v3, v2, s[2:3]
	v_cmp_lt_u32_e64 s[2:3], 31, v23
	v_cndmask_b32_e64 v4, 0, v4, s[2:3]
	v_cndmask_b32_e64 v3, 0, v6, s[2:3]
	v_add_co_u32_e64 v30, s[2:3], v4, v2
	v_addc_co_u32_e64 v31, s[2:3], v3, v1, s[2:3]
; %bb.62:
	s_or_b64 exec, exec, s[6:7]
	v_or_b32_e32 v2, 63, v0
	v_lshrrev_b32_e32 v1, 6, v0
	v_cmp_eq_u32_e64 s[2:3], v2, v0
	s_and_saveexec_b64 s[4:5], s[2:3]
	s_cbranch_execz .LBB21_64
; %bb.63:
	v_lshlrev_b32_e32 v2, 3, v1
	ds_write_b64 v2, v[30:31]
.LBB21_64:
	s_or_b64 exec, exec, s[4:5]
	v_cmp_gt_u32_e64 s[2:3], 4, v0
	s_waitcnt lgkmcnt(0)
	s_barrier
	s_and_saveexec_b64 s[6:7], s[2:3]
	s_cbranch_execz .LBB21_66
; %bb.65:
	v_add_u32_e32 v4, v25, v0
	ds_read_b64 v[2:3], v4
	v_and_b32_e32 v5, 3, v23
	v_cmp_ne_u32_e64 s[4:5], 1, v5
	s_waitcnt lgkmcnt(0)
	v_mov_b32_dpp v6, v2 row_shr:1 row_mask:0xf bank_mask:0xf
	v_add_co_u32_e64 v6, s[2:3], v2, v6
	v_addc_co_u32_e64 v8, s[2:3], 0, v3, s[2:3]
	v_mov_b32_dpp v7, v3 row_shr:1 row_mask:0xf bank_mask:0xf
	v_add_co_u32_e64 v9, s[2:3], 0, v6
	v_addc_co_u32_e64 v7, s[2:3], v7, v8, s[2:3]
	v_cmp_eq_u32_e64 s[2:3], 0, v5
	v_cndmask_b32_e64 v6, v6, v2, s[2:3]
	v_cndmask_b32_e64 v8, v7, v3, s[2:3]
	s_nop 0
	v_mov_b32_dpp v6, v6 row_shr:2 row_mask:0xf bank_mask:0xf
	v_mov_b32_dpp v8, v8 row_shr:2 row_mask:0xf bank_mask:0xf
	v_cndmask_b32_e64 v5, 0, v6, s[4:5]
	v_cndmask_b32_e64 v6, 0, v8, s[4:5]
	v_add_co_u32_e64 v5, s[4:5], v5, v9
	v_addc_co_u32_e64 v6, s[4:5], v6, v7, s[4:5]
	v_cndmask_b32_e64 v3, v6, v3, s[2:3]
	v_cndmask_b32_e64 v2, v5, v2, s[2:3]
	ds_write_b64 v4, v[2:3]
.LBB21_66:
	s_or_b64 exec, exec, s[6:7]
	v_cmp_lt_u32_e64 s[2:3], 63, v0
	v_pk_mov_b32 v[2:3], 0, 0
	s_waitcnt lgkmcnt(0)
	s_barrier
	s_and_saveexec_b64 s[4:5], s[2:3]
	s_cbranch_execz .LBB21_68
; %bb.67:
	v_lshl_add_u32 v1, v1, 3, -8
	ds_read_b64 v[2:3], v1
.LBB21_68:
	s_or_b64 exec, exec, s[4:5]
	s_waitcnt lgkmcnt(0)
	v_add_co_u32_e64 v1, s[2:3], v2, v30
	v_addc_co_u32_e64 v4, s[2:3], v3, v31, s[2:3]
	v_add_u32_e32 v5, -1, v23
	v_and_b32_e32 v6, 64, v23
	v_cmp_lt_i32_e64 s[2:3], v5, v6
	v_cndmask_b32_e64 v5, v5, v23, s[2:3]
	v_lshlrev_b32_e32 v5, 2, v5
	v_mov_b32_e32 v7, 0
	ds_bpermute_b32 v1, v5, v1
	ds_bpermute_b32 v8, v5, v4
	ds_read_b64 v[4:5], v7 offset:24
	s_and_saveexec_b64 s[2:3], s[0:1]
	s_cbranch_execz .LBB21_70
; %bb.69:
	s_add_u32 s4, s22, 0x400
	s_addc_u32 s5, s23, 0
	v_mov_b32_e32 v6, 2
	v_pk_mov_b32 v[30:31], s[4:5], s[4:5] op_sel:[0,1]
	s_waitcnt lgkmcnt(0)
	;;#ASMSTART
	global_store_dwordx4 v[30:31], v[4:7] off	
s_waitcnt vmcnt(0)
	;;#ASMEND
.LBB21_70:
	s_or_b64 exec, exec, s[2:3]
	s_waitcnt lgkmcnt(2)
	v_cndmask_b32_e32 v1, v1, v2, vcc
	s_waitcnt lgkmcnt(1)
	v_cndmask_b32_e32 v2, v8, v3, vcc
	v_cndmask_b32_e64 v40, v1, 0, s[0:1]
	v_cndmask_b32_e64 v41, v2, 0, s[0:1]
	v_add_co_u32_e32 v38, vcc, v40, v28
	v_addc_co_u32_e32 v39, vcc, 0, v41, vcc
	v_add_co_u32_e32 v36, vcc, v38, v26
	v_addc_co_u32_e32 v37, vcc, 0, v39, vcc
	;; [unrolled: 2-line block ×6, first 2 shown]
	s_waitcnt lgkmcnt(0)
	s_barrier
	v_pk_mov_b32 v[6:7], 0, 0
.LBB21_71:
	s_mov_b64 s[2:3], 0x101
	s_waitcnt lgkmcnt(0)
	v_cmp_gt_u64_e32 vcc, s[2:3], v[4:5]
	s_mov_b64 s[2:3], -1
	s_cbranch_vccnz .LBB21_75
; %bb.72:
	s_and_b64 vcc, exec, s[2:3]
	s_cbranch_vccnz .LBB21_97
.LBB21_73:
	s_and_b64 s[0:1], s[0:1], s[18:19]
	s_and_saveexec_b64 s[2:3], s[0:1]
	s_cbranch_execnz .LBB21_116
.LBB21_74:
	s_endpgm
.LBB21_75:
	v_add_co_u32_e32 v30, vcc, v6, v4
	v_addc_co_u32_e32 v31, vcc, v7, v5, vcc
	s_waitcnt vmcnt(0)
	v_lshlrev_b64 v[42:43], 2, v[12:13]
	v_mov_b32_e32 v23, s15
	v_add_co_u32_e32 v1, vcc, s14, v42
	v_addc_co_u32_e32 v23, vcc, v23, v43, vcc
	v_cmp_lt_u64_e32 vcc, v[40:41], v[30:31]
	s_or_b64 s[4:5], s[20:21], vcc
	s_and_saveexec_b64 s[2:3], s[4:5]
	s_cbranch_execz .LBB21_78
; %bb.76:
	v_cmp_eq_u32_e32 vcc, 1, v28
	s_and_b64 exec, exec, vcc
	s_cbranch_execz .LBB21_78
; %bb.77:
	v_lshlrev_b64 v[42:43], 2, v[40:41]
	v_add_co_u32_e32 v42, vcc, v1, v42
	v_addc_co_u32_e32 v43, vcc, v23, v43, vcc
	global_store_dword v[42:43], v16, off
.LBB21_78:
	s_or_b64 exec, exec, s[2:3]
	v_cmp_lt_u64_e32 vcc, v[38:39], v[30:31]
	s_or_b64 s[4:5], s[20:21], vcc
	s_and_saveexec_b64 s[2:3], s[4:5]
	s_cbranch_execz .LBB21_81
; %bb.79:
	v_cmp_eq_u32_e32 vcc, 1, v26
	s_and_b64 exec, exec, vcc
	s_cbranch_execz .LBB21_81
; %bb.80:
	v_lshlrev_b64 v[42:43], 2, v[38:39]
	v_add_co_u32_e32 v42, vcc, v1, v42
	v_addc_co_u32_e32 v43, vcc, v23, v43, vcc
	global_store_dword v[42:43], v17, off
.LBB21_81:
	s_or_b64 exec, exec, s[2:3]
	;; [unrolled: 15-line block ×7, first 2 shown]
	s_branch .LBB21_73
.LBB21_97:
	v_cmp_eq_u32_e32 vcc, 1, v28
	s_and_saveexec_b64 s[2:3], vcc
	s_cbranch_execnz .LBB21_117
; %bb.98:
	s_or_b64 exec, exec, s[2:3]
	v_cmp_eq_u32_e32 vcc, 1, v26
	s_and_saveexec_b64 s[2:3], vcc
	s_cbranch_execnz .LBB21_118
.LBB21_99:
	s_or_b64 exec, exec, s[2:3]
	v_cmp_eq_u32_e32 vcc, 1, v24
	s_and_saveexec_b64 s[2:3], vcc
	s_cbranch_execnz .LBB21_119
.LBB21_100:
	s_or_b64 exec, exec, s[2:3]
	v_cmp_eq_u32_e32 vcc, 1, v22
	s_and_saveexec_b64 s[2:3], vcc
	s_cbranch_execnz .LBB21_120
.LBB21_101:
	s_or_b64 exec, exec, s[2:3]
	v_cmp_eq_u32_e32 vcc, 1, v20
	s_and_saveexec_b64 s[2:3], vcc
	s_cbranch_execnz .LBB21_121
.LBB21_102:
	s_or_b64 exec, exec, s[2:3]
	v_cmp_eq_u32_e32 vcc, 1, v18
	s_and_saveexec_b64 s[2:3], vcc
	s_cbranch_execnz .LBB21_122
.LBB21_103:
	s_or_b64 exec, exec, s[2:3]
	v_cmp_eq_u32_e32 vcc, 1, v21
	s_and_saveexec_b64 s[2:3], vcc
	s_cbranch_execz .LBB21_105
.LBB21_104:
	v_sub_u32_e32 v1, v8, v6
	v_lshlrev_b32_e32 v1, 2, v1
	ds_write_b32 v1, v19
.LBB21_105:
	s_or_b64 exec, exec, s[2:3]
	v_mov_b32_e32 v1, 0
	v_cmp_gt_u64_e32 vcc, v[4:5], v[0:1]
	s_waitcnt lgkmcnt(0)
	s_barrier
	s_and_saveexec_b64 s[8:9], vcc
	s_cbranch_execz .LBB21_115
; %bb.106:
	v_not_b32_e32 v3, v0
	v_not_b32_e32 v2, 0
	v_add_co_u32_e32 v8, vcc, v4, v3
	v_addc_co_u32_e32 v9, vcc, v5, v2, vcc
	s_mov_b64 s[2:3], 0x2f00
	s_mov_b64 s[4:5], 0x2eff
	v_cmp_gt_u64_e64 s[2:3], s[2:3], v[8:9]
	v_cmp_lt_u64_e32 vcc, s[4:5], v[8:9]
	v_pk_mov_b32 v[2:3], v[0:1], v[0:1] op_sel:[0,1]
	s_and_saveexec_b64 s[10:11], vcc
	s_cbranch_execz .LBB21_112
; %bb.107:
	v_alignbit_b32 v2, v9, v8, 8
	s_mov_b32 s4, 0xffffff
	s_mov_b32 s6, -1
	v_lshlrev_b32_e32 v3, 8, v2
	v_cmp_lt_u32_e32 vcc, s4, v2
	v_not_b32_e32 v2, v0
	s_movk_i32 s7, 0xff
	v_cmp_gt_u32_e64 s[4:5], v3, v2
	v_xor_b32_e32 v2, 0xfffffeff, v0
	v_cmp_lt_u64_e64 s[6:7], s[6:7], v[8:9]
	s_or_b64 s[12:13], s[4:5], vcc
	v_cmp_lt_u32_e64 s[4:5], v2, v3
	s_or_b64 s[6:7], vcc, s[6:7]
	s_or_b64 s[4:5], s[6:7], s[4:5]
	s_or_b64 s[6:7], s[12:13], s[4:5]
	s_mov_b64 s[4:5], -1
	s_xor_b64 s[12:13], s[6:7], -1
	v_pk_mov_b32 v[2:3], v[0:1], v[0:1] op_sel:[0,1]
	s_and_saveexec_b64 s[6:7], s[12:13]
	s_cbranch_execz .LBB21_111
; %bb.108:
	v_lshrrev_b64 v[2:3], 8, v[8:9]
	v_add_co_u32_e32 v14, vcc, 1, v2
	v_addc_co_u32_e32 v15, vcc, 0, v3, vcc
	v_lshlrev_b64 v[8:9], 2, v[6:7]
	s_waitcnt vmcnt(0)
	v_lshlrev_b64 v[10:11], 2, v[12:13]
	v_add_co_u32_e32 v8, vcc, v8, v10
	v_addc_co_u32_e32 v9, vcc, v9, v11, vcc
	v_mov_b32_e32 v11, s15
	v_add_co_u32_e32 v8, vcc, s14, v8
	v_lshlrev_b32_e32 v10, 2, v0
	v_addc_co_u32_e32 v9, vcc, v11, v9, vcc
	v_add_co_u32_e32 v8, vcc, v8, v10
	v_addc_co_u32_e32 v9, vcc, 0, v9, vcc
	s_movk_i32 s4, 0x400
	v_or_b32_e32 v2, 0x100, v0
	v_mov_b32_e32 v3, v1
	v_add_co_u32_e32 v18, vcc, s4, v8
	v_and_b32_e32 v16, -2, v14
	v_mov_b32_e32 v17, v15
	v_addc_co_u32_e32 v19, vcc, 0, v9, vcc
	v_pk_mov_b32 v[10:11], v[2:3], v[2:3] op_sel:[0,1]
	s_mov_b64 s[12:13], 0
	v_pk_mov_b32 v[20:21], v[16:17], v[16:17] op_sel:[0,1]
	v_pk_mov_b32 v[8:9], v[0:1], v[0:1] op_sel:[0,1]
.LBB21_109:                             ; =>This Inner Loop Header: Depth=1
	v_lshlrev_b32_e32 v1, 2, v8
	v_lshlrev_b32_e32 v2, 2, v10
	ds_read_b32 v1, v1
	ds_read_b32 v2, v2
	v_add_co_u32_e32 v10, vcc, 0x200, v10
	v_addc_co_u32_e32 v11, vcc, 0, v11, vcc
	v_add_co_u32_e64 v20, s[4:5], -2, v20
	v_add_co_u32_e32 v8, vcc, 0x200, v8
	v_addc_co_u32_e64 v21, s[4:5], -1, v21, s[4:5]
	v_addc_co_u32_e32 v9, vcc, 0, v9, vcc
	v_cmp_eq_u64_e64 s[4:5], 0, v[20:21]
	s_waitcnt lgkmcnt(1)
	global_store_dword v[18:19], v1, off offset:-1024
	s_waitcnt lgkmcnt(0)
	global_store_dword v[18:19], v2, off
	v_add_co_u32_e32 v18, vcc, 0x800, v18
	s_or_b64 s[12:13], s[4:5], s[12:13]
	v_addc_co_u32_e32 v19, vcc, 0, v19, vcc
	s_andn2_b64 exec, exec, s[12:13]
	s_cbranch_execnz .LBB21_109
; %bb.110:
	s_or_b64 exec, exec, s[12:13]
	v_lshlrev_b64 v[2:3], 8, v[16:17]
	v_cmp_ne_u64_e32 vcc, v[14:15], v[16:17]
	v_or_b32_e32 v3, 0, v3
	v_or_b32_e32 v2, v2, v0
	v_lshl_or_b32 v0, v16, 8, v0
	s_orn2_b64 s[4:5], vcc, exec
.LBB21_111:
	s_or_b64 exec, exec, s[6:7]
	s_andn2_b64 s[2:3], s[2:3], exec
	s_and_b64 s[4:5], s[4:5], exec
	s_or_b64 s[2:3], s[2:3], s[4:5]
.LBB21_112:
	s_or_b64 exec, exec, s[10:11]
	s_and_b64 exec, exec, s[2:3]
	s_cbranch_execz .LBB21_115
; %bb.113:
	v_lshlrev_b64 v[8:9], 2, v[6:7]
	v_mov_b32_e32 v1, s15
	v_add_co_u32_e32 v10, vcc, s14, v8
	v_addc_co_u32_e32 v1, vcc, v1, v9, vcc
	s_waitcnt vmcnt(0)
	v_lshlrev_b64 v[8:9], 2, v[12:13]
	v_add_co_u32_e32 v8, vcc, v10, v8
	v_addc_co_u32_e32 v9, vcc, v1, v9, vcc
	v_add_u32_e32 v0, 0x100, v0
	s_mov_b64 s[4:5], 0
	v_mov_b32_e32 v1, 0
.LBB21_114:                             ; =>This Inner Loop Header: Depth=1
	v_lshlrev_b32_e32 v14, 2, v2
	ds_read_b32 v14, v14
	v_lshlrev_b64 v[10:11], 2, v[2:3]
	v_cmp_le_u64_e32 vcc, v[4:5], v[0:1]
	v_add_co_u32_e64 v10, s[2:3], v8, v10
	v_pk_mov_b32 v[2:3], v[0:1], v[0:1] op_sel:[0,1]
	v_add_u32_e32 v0, 0x100, v0
	v_addc_co_u32_e64 v11, s[2:3], v9, v11, s[2:3]
	s_or_b64 s[4:5], vcc, s[4:5]
	s_waitcnt lgkmcnt(0)
	global_store_dword v[10:11], v14, off
	s_andn2_b64 exec, exec, s[4:5]
	s_cbranch_execnz .LBB21_114
.LBB21_115:
	s_or_b64 exec, exec, s[8:9]
	s_and_b64 s[0:1], s[0:1], s[18:19]
	s_and_saveexec_b64 s[2:3], s[0:1]
	s_cbranch_execz .LBB21_74
.LBB21_116:
	v_add_co_u32_e32 v0, vcc, v6, v4
	v_addc_co_u32_e32 v1, vcc, v7, v5, vcc
	s_waitcnt vmcnt(0)
	v_add_co_u32_e32 v0, vcc, v0, v12
	v_mov_b32_e32 v2, 0
	v_addc_co_u32_e32 v1, vcc, v1, v13, vcc
	global_store_dwordx2 v2, v[0:1], s[16:17]
	s_endpgm
.LBB21_117:
	v_sub_u32_e32 v1, v40, v6
	v_lshlrev_b32_e32 v1, 2, v1
	ds_write_b32 v1, v16
	s_or_b64 exec, exec, s[2:3]
	v_cmp_eq_u32_e32 vcc, 1, v26
	s_and_saveexec_b64 s[2:3], vcc
	s_cbranch_execz .LBB21_99
.LBB21_118:
	v_sub_u32_e32 v1, v38, v6
	v_lshlrev_b32_e32 v1, 2, v1
	ds_write_b32 v1, v17
	s_or_b64 exec, exec, s[2:3]
	v_cmp_eq_u32_e32 vcc, 1, v24
	s_and_saveexec_b64 s[2:3], vcc
	s_cbranch_execz .LBB21_100
.LBB21_119:
	v_sub_u32_e32 v1, v36, v6
	v_lshlrev_b32_e32 v1, 2, v1
	ds_write_b32 v1, v14
	s_or_b64 exec, exec, s[2:3]
	v_cmp_eq_u32_e32 vcc, 1, v22
	s_and_saveexec_b64 s[2:3], vcc
	s_cbranch_execz .LBB21_101
.LBB21_120:
	v_sub_u32_e32 v1, v34, v6
	v_lshlrev_b32_e32 v1, 2, v1
	ds_write_b32 v1, v15
	s_or_b64 exec, exec, s[2:3]
	v_cmp_eq_u32_e32 vcc, 1, v20
	s_and_saveexec_b64 s[2:3], vcc
	s_cbranch_execz .LBB21_102
.LBB21_121:
	v_sub_u32_e32 v1, v32, v6
	v_lshlrev_b32_e32 v1, 2, v1
	ds_write_b32 v1, v10
	s_or_b64 exec, exec, s[2:3]
	v_cmp_eq_u32_e32 vcc, 1, v18
	s_and_saveexec_b64 s[2:3], vcc
	s_cbranch_execz .LBB21_103
.LBB21_122:
	v_sub_u32_e32 v1, v2, v6
	v_lshlrev_b32_e32 v1, 2, v1
	ds_write_b32 v1, v11
	s_or_b64 exec, exec, s[2:3]
	v_cmp_eq_u32_e32 vcc, 1, v21
	s_and_saveexec_b64 s[2:3], vcc
	s_cbranch_execnz .LBB21_104
	s_branch .LBB21_105
	.section	.rodata,"a",@progbits
	.p2align	6, 0x0
	.amdhsa_kernel _ZN7rocprim17ROCPRIM_400000_NS6detail17trampoline_kernelINS0_14default_configENS1_25partition_config_selectorILNS1_17partition_subalgoE5EiNS0_10empty_typeEbEEZZNS1_14partition_implILS5_5ELb0ES3_mN6thrust23THRUST_200600_302600_NS17counting_iteratorIiNSA_11use_defaultESC_SC_EEPS6_NSA_18transform_iteratorINSA_8identityIiEENSA_6detail15normal_iteratorINSA_10device_ptrIiEEEESC_SC_EENS0_5tupleIJSM_S6_EEENSO_IJSE_SE_EEES6_PlJS6_EEE10hipError_tPvRmT3_T4_T5_T6_T7_T9_mT8_P12ihipStream_tbDpT10_ENKUlT_T0_E_clISt17integral_constantIbLb1EES1B_EEDaS16_S17_EUlS16_E_NS1_11comp_targetILNS1_3genE4ELNS1_11target_archE910ELNS1_3gpuE8ELNS1_3repE0EEENS1_30default_config_static_selectorELNS0_4arch9wavefront6targetE1EEEvT1_
		.amdhsa_group_segment_fixed_size 7184
		.amdhsa_private_segment_fixed_size 0
		.amdhsa_kernarg_size 136
		.amdhsa_user_sgpr_count 6
		.amdhsa_user_sgpr_private_segment_buffer 1
		.amdhsa_user_sgpr_dispatch_ptr 0
		.amdhsa_user_sgpr_queue_ptr 0
		.amdhsa_user_sgpr_kernarg_segment_ptr 1
		.amdhsa_user_sgpr_dispatch_id 0
		.amdhsa_user_sgpr_flat_scratch_init 0
		.amdhsa_user_sgpr_kernarg_preload_length 0
		.amdhsa_user_sgpr_kernarg_preload_offset 0
		.amdhsa_user_sgpr_private_segment_size 0
		.amdhsa_uses_dynamic_stack 0
		.amdhsa_system_sgpr_private_segment_wavefront_offset 0
		.amdhsa_system_sgpr_workgroup_id_x 1
		.amdhsa_system_sgpr_workgroup_id_y 0
		.amdhsa_system_sgpr_workgroup_id_z 0
		.amdhsa_system_sgpr_workgroup_info 0
		.amdhsa_system_vgpr_workitem_id 0
		.amdhsa_next_free_vgpr 58
		.amdhsa_next_free_sgpr 28
		.amdhsa_accum_offset 60
		.amdhsa_reserve_vcc 1
		.amdhsa_reserve_flat_scratch 0
		.amdhsa_float_round_mode_32 0
		.amdhsa_float_round_mode_16_64 0
		.amdhsa_float_denorm_mode_32 3
		.amdhsa_float_denorm_mode_16_64 3
		.amdhsa_dx10_clamp 1
		.amdhsa_ieee_mode 1
		.amdhsa_fp16_overflow 0
		.amdhsa_tg_split 0
		.amdhsa_exception_fp_ieee_invalid_op 0
		.amdhsa_exception_fp_denorm_src 0
		.amdhsa_exception_fp_ieee_div_zero 0
		.amdhsa_exception_fp_ieee_overflow 0
		.amdhsa_exception_fp_ieee_underflow 0
		.amdhsa_exception_fp_ieee_inexact 0
		.amdhsa_exception_int_div_zero 0
	.end_amdhsa_kernel
	.section	.text._ZN7rocprim17ROCPRIM_400000_NS6detail17trampoline_kernelINS0_14default_configENS1_25partition_config_selectorILNS1_17partition_subalgoE5EiNS0_10empty_typeEbEEZZNS1_14partition_implILS5_5ELb0ES3_mN6thrust23THRUST_200600_302600_NS17counting_iteratorIiNSA_11use_defaultESC_SC_EEPS6_NSA_18transform_iteratorINSA_8identityIiEENSA_6detail15normal_iteratorINSA_10device_ptrIiEEEESC_SC_EENS0_5tupleIJSM_S6_EEENSO_IJSE_SE_EEES6_PlJS6_EEE10hipError_tPvRmT3_T4_T5_T6_T7_T9_mT8_P12ihipStream_tbDpT10_ENKUlT_T0_E_clISt17integral_constantIbLb1EES1B_EEDaS16_S17_EUlS16_E_NS1_11comp_targetILNS1_3genE4ELNS1_11target_archE910ELNS1_3gpuE8ELNS1_3repE0EEENS1_30default_config_static_selectorELNS0_4arch9wavefront6targetE1EEEvT1_,"axG",@progbits,_ZN7rocprim17ROCPRIM_400000_NS6detail17trampoline_kernelINS0_14default_configENS1_25partition_config_selectorILNS1_17partition_subalgoE5EiNS0_10empty_typeEbEEZZNS1_14partition_implILS5_5ELb0ES3_mN6thrust23THRUST_200600_302600_NS17counting_iteratorIiNSA_11use_defaultESC_SC_EEPS6_NSA_18transform_iteratorINSA_8identityIiEENSA_6detail15normal_iteratorINSA_10device_ptrIiEEEESC_SC_EENS0_5tupleIJSM_S6_EEENSO_IJSE_SE_EEES6_PlJS6_EEE10hipError_tPvRmT3_T4_T5_T6_T7_T9_mT8_P12ihipStream_tbDpT10_ENKUlT_T0_E_clISt17integral_constantIbLb1EES1B_EEDaS16_S17_EUlS16_E_NS1_11comp_targetILNS1_3genE4ELNS1_11target_archE910ELNS1_3gpuE8ELNS1_3repE0EEENS1_30default_config_static_selectorELNS0_4arch9wavefront6targetE1EEEvT1_,comdat
.Lfunc_end21:
	.size	_ZN7rocprim17ROCPRIM_400000_NS6detail17trampoline_kernelINS0_14default_configENS1_25partition_config_selectorILNS1_17partition_subalgoE5EiNS0_10empty_typeEbEEZZNS1_14partition_implILS5_5ELb0ES3_mN6thrust23THRUST_200600_302600_NS17counting_iteratorIiNSA_11use_defaultESC_SC_EEPS6_NSA_18transform_iteratorINSA_8identityIiEENSA_6detail15normal_iteratorINSA_10device_ptrIiEEEESC_SC_EENS0_5tupleIJSM_S6_EEENSO_IJSE_SE_EEES6_PlJS6_EEE10hipError_tPvRmT3_T4_T5_T6_T7_T9_mT8_P12ihipStream_tbDpT10_ENKUlT_T0_E_clISt17integral_constantIbLb1EES1B_EEDaS16_S17_EUlS16_E_NS1_11comp_targetILNS1_3genE4ELNS1_11target_archE910ELNS1_3gpuE8ELNS1_3repE0EEENS1_30default_config_static_selectorELNS0_4arch9wavefront6targetE1EEEvT1_, .Lfunc_end21-_ZN7rocprim17ROCPRIM_400000_NS6detail17trampoline_kernelINS0_14default_configENS1_25partition_config_selectorILNS1_17partition_subalgoE5EiNS0_10empty_typeEbEEZZNS1_14partition_implILS5_5ELb0ES3_mN6thrust23THRUST_200600_302600_NS17counting_iteratorIiNSA_11use_defaultESC_SC_EEPS6_NSA_18transform_iteratorINSA_8identityIiEENSA_6detail15normal_iteratorINSA_10device_ptrIiEEEESC_SC_EENS0_5tupleIJSM_S6_EEENSO_IJSE_SE_EEES6_PlJS6_EEE10hipError_tPvRmT3_T4_T5_T6_T7_T9_mT8_P12ihipStream_tbDpT10_ENKUlT_T0_E_clISt17integral_constantIbLb1EES1B_EEDaS16_S17_EUlS16_E_NS1_11comp_targetILNS1_3genE4ELNS1_11target_archE910ELNS1_3gpuE8ELNS1_3repE0EEENS1_30default_config_static_selectorELNS0_4arch9wavefront6targetE1EEEvT1_
                                        ; -- End function
	.section	.AMDGPU.csdata,"",@progbits
; Kernel info:
; codeLenInByte = 6580
; NumSgprs: 32
; NumVgprs: 58
; NumAgprs: 0
; TotalNumVgprs: 58
; ScratchSize: 0
; MemoryBound: 0
; FloatMode: 240
; IeeeMode: 1
; LDSByteSize: 7184 bytes/workgroup (compile time only)
; SGPRBlocks: 3
; VGPRBlocks: 7
; NumSGPRsForWavesPerEU: 32
; NumVGPRsForWavesPerEU: 58
; AccumOffset: 60
; Occupancy: 8
; WaveLimiterHint : 1
; COMPUTE_PGM_RSRC2:SCRATCH_EN: 0
; COMPUTE_PGM_RSRC2:USER_SGPR: 6
; COMPUTE_PGM_RSRC2:TRAP_HANDLER: 0
; COMPUTE_PGM_RSRC2:TGID_X_EN: 1
; COMPUTE_PGM_RSRC2:TGID_Y_EN: 0
; COMPUTE_PGM_RSRC2:TGID_Z_EN: 0
; COMPUTE_PGM_RSRC2:TIDIG_COMP_CNT: 0
; COMPUTE_PGM_RSRC3_GFX90A:ACCUM_OFFSET: 14
; COMPUTE_PGM_RSRC3_GFX90A:TG_SPLIT: 0
	.section	.text._ZN7rocprim17ROCPRIM_400000_NS6detail17trampoline_kernelINS0_14default_configENS1_25partition_config_selectorILNS1_17partition_subalgoE5EiNS0_10empty_typeEbEEZZNS1_14partition_implILS5_5ELb0ES3_mN6thrust23THRUST_200600_302600_NS17counting_iteratorIiNSA_11use_defaultESC_SC_EEPS6_NSA_18transform_iteratorINSA_8identityIiEENSA_6detail15normal_iteratorINSA_10device_ptrIiEEEESC_SC_EENS0_5tupleIJSM_S6_EEENSO_IJSE_SE_EEES6_PlJS6_EEE10hipError_tPvRmT3_T4_T5_T6_T7_T9_mT8_P12ihipStream_tbDpT10_ENKUlT_T0_E_clISt17integral_constantIbLb1EES1B_EEDaS16_S17_EUlS16_E_NS1_11comp_targetILNS1_3genE3ELNS1_11target_archE908ELNS1_3gpuE7ELNS1_3repE0EEENS1_30default_config_static_selectorELNS0_4arch9wavefront6targetE1EEEvT1_,"axG",@progbits,_ZN7rocprim17ROCPRIM_400000_NS6detail17trampoline_kernelINS0_14default_configENS1_25partition_config_selectorILNS1_17partition_subalgoE5EiNS0_10empty_typeEbEEZZNS1_14partition_implILS5_5ELb0ES3_mN6thrust23THRUST_200600_302600_NS17counting_iteratorIiNSA_11use_defaultESC_SC_EEPS6_NSA_18transform_iteratorINSA_8identityIiEENSA_6detail15normal_iteratorINSA_10device_ptrIiEEEESC_SC_EENS0_5tupleIJSM_S6_EEENSO_IJSE_SE_EEES6_PlJS6_EEE10hipError_tPvRmT3_T4_T5_T6_T7_T9_mT8_P12ihipStream_tbDpT10_ENKUlT_T0_E_clISt17integral_constantIbLb1EES1B_EEDaS16_S17_EUlS16_E_NS1_11comp_targetILNS1_3genE3ELNS1_11target_archE908ELNS1_3gpuE7ELNS1_3repE0EEENS1_30default_config_static_selectorELNS0_4arch9wavefront6targetE1EEEvT1_,comdat
	.protected	_ZN7rocprim17ROCPRIM_400000_NS6detail17trampoline_kernelINS0_14default_configENS1_25partition_config_selectorILNS1_17partition_subalgoE5EiNS0_10empty_typeEbEEZZNS1_14partition_implILS5_5ELb0ES3_mN6thrust23THRUST_200600_302600_NS17counting_iteratorIiNSA_11use_defaultESC_SC_EEPS6_NSA_18transform_iteratorINSA_8identityIiEENSA_6detail15normal_iteratorINSA_10device_ptrIiEEEESC_SC_EENS0_5tupleIJSM_S6_EEENSO_IJSE_SE_EEES6_PlJS6_EEE10hipError_tPvRmT3_T4_T5_T6_T7_T9_mT8_P12ihipStream_tbDpT10_ENKUlT_T0_E_clISt17integral_constantIbLb1EES1B_EEDaS16_S17_EUlS16_E_NS1_11comp_targetILNS1_3genE3ELNS1_11target_archE908ELNS1_3gpuE7ELNS1_3repE0EEENS1_30default_config_static_selectorELNS0_4arch9wavefront6targetE1EEEvT1_ ; -- Begin function _ZN7rocprim17ROCPRIM_400000_NS6detail17trampoline_kernelINS0_14default_configENS1_25partition_config_selectorILNS1_17partition_subalgoE5EiNS0_10empty_typeEbEEZZNS1_14partition_implILS5_5ELb0ES3_mN6thrust23THRUST_200600_302600_NS17counting_iteratorIiNSA_11use_defaultESC_SC_EEPS6_NSA_18transform_iteratorINSA_8identityIiEENSA_6detail15normal_iteratorINSA_10device_ptrIiEEEESC_SC_EENS0_5tupleIJSM_S6_EEENSO_IJSE_SE_EEES6_PlJS6_EEE10hipError_tPvRmT3_T4_T5_T6_T7_T9_mT8_P12ihipStream_tbDpT10_ENKUlT_T0_E_clISt17integral_constantIbLb1EES1B_EEDaS16_S17_EUlS16_E_NS1_11comp_targetILNS1_3genE3ELNS1_11target_archE908ELNS1_3gpuE7ELNS1_3repE0EEENS1_30default_config_static_selectorELNS0_4arch9wavefront6targetE1EEEvT1_
	.globl	_ZN7rocprim17ROCPRIM_400000_NS6detail17trampoline_kernelINS0_14default_configENS1_25partition_config_selectorILNS1_17partition_subalgoE5EiNS0_10empty_typeEbEEZZNS1_14partition_implILS5_5ELb0ES3_mN6thrust23THRUST_200600_302600_NS17counting_iteratorIiNSA_11use_defaultESC_SC_EEPS6_NSA_18transform_iteratorINSA_8identityIiEENSA_6detail15normal_iteratorINSA_10device_ptrIiEEEESC_SC_EENS0_5tupleIJSM_S6_EEENSO_IJSE_SE_EEES6_PlJS6_EEE10hipError_tPvRmT3_T4_T5_T6_T7_T9_mT8_P12ihipStream_tbDpT10_ENKUlT_T0_E_clISt17integral_constantIbLb1EES1B_EEDaS16_S17_EUlS16_E_NS1_11comp_targetILNS1_3genE3ELNS1_11target_archE908ELNS1_3gpuE7ELNS1_3repE0EEENS1_30default_config_static_selectorELNS0_4arch9wavefront6targetE1EEEvT1_
	.p2align	8
	.type	_ZN7rocprim17ROCPRIM_400000_NS6detail17trampoline_kernelINS0_14default_configENS1_25partition_config_selectorILNS1_17partition_subalgoE5EiNS0_10empty_typeEbEEZZNS1_14partition_implILS5_5ELb0ES3_mN6thrust23THRUST_200600_302600_NS17counting_iteratorIiNSA_11use_defaultESC_SC_EEPS6_NSA_18transform_iteratorINSA_8identityIiEENSA_6detail15normal_iteratorINSA_10device_ptrIiEEEESC_SC_EENS0_5tupleIJSM_S6_EEENSO_IJSE_SE_EEES6_PlJS6_EEE10hipError_tPvRmT3_T4_T5_T6_T7_T9_mT8_P12ihipStream_tbDpT10_ENKUlT_T0_E_clISt17integral_constantIbLb1EES1B_EEDaS16_S17_EUlS16_E_NS1_11comp_targetILNS1_3genE3ELNS1_11target_archE908ELNS1_3gpuE7ELNS1_3repE0EEENS1_30default_config_static_selectorELNS0_4arch9wavefront6targetE1EEEvT1_,@function
_ZN7rocprim17ROCPRIM_400000_NS6detail17trampoline_kernelINS0_14default_configENS1_25partition_config_selectorILNS1_17partition_subalgoE5EiNS0_10empty_typeEbEEZZNS1_14partition_implILS5_5ELb0ES3_mN6thrust23THRUST_200600_302600_NS17counting_iteratorIiNSA_11use_defaultESC_SC_EEPS6_NSA_18transform_iteratorINSA_8identityIiEENSA_6detail15normal_iteratorINSA_10device_ptrIiEEEESC_SC_EENS0_5tupleIJSM_S6_EEENSO_IJSE_SE_EEES6_PlJS6_EEE10hipError_tPvRmT3_T4_T5_T6_T7_T9_mT8_P12ihipStream_tbDpT10_ENKUlT_T0_E_clISt17integral_constantIbLb1EES1B_EEDaS16_S17_EUlS16_E_NS1_11comp_targetILNS1_3genE3ELNS1_11target_archE908ELNS1_3gpuE7ELNS1_3repE0EEENS1_30default_config_static_selectorELNS0_4arch9wavefront6targetE1EEEvT1_: ; @_ZN7rocprim17ROCPRIM_400000_NS6detail17trampoline_kernelINS0_14default_configENS1_25partition_config_selectorILNS1_17partition_subalgoE5EiNS0_10empty_typeEbEEZZNS1_14partition_implILS5_5ELb0ES3_mN6thrust23THRUST_200600_302600_NS17counting_iteratorIiNSA_11use_defaultESC_SC_EEPS6_NSA_18transform_iteratorINSA_8identityIiEENSA_6detail15normal_iteratorINSA_10device_ptrIiEEEESC_SC_EENS0_5tupleIJSM_S6_EEENSO_IJSE_SE_EEES6_PlJS6_EEE10hipError_tPvRmT3_T4_T5_T6_T7_T9_mT8_P12ihipStream_tbDpT10_ENKUlT_T0_E_clISt17integral_constantIbLb1EES1B_EEDaS16_S17_EUlS16_E_NS1_11comp_targetILNS1_3genE3ELNS1_11target_archE908ELNS1_3gpuE7ELNS1_3repE0EEENS1_30default_config_static_selectorELNS0_4arch9wavefront6targetE1EEEvT1_
; %bb.0:
	.section	.rodata,"a",@progbits
	.p2align	6, 0x0
	.amdhsa_kernel _ZN7rocprim17ROCPRIM_400000_NS6detail17trampoline_kernelINS0_14default_configENS1_25partition_config_selectorILNS1_17partition_subalgoE5EiNS0_10empty_typeEbEEZZNS1_14partition_implILS5_5ELb0ES3_mN6thrust23THRUST_200600_302600_NS17counting_iteratorIiNSA_11use_defaultESC_SC_EEPS6_NSA_18transform_iteratorINSA_8identityIiEENSA_6detail15normal_iteratorINSA_10device_ptrIiEEEESC_SC_EENS0_5tupleIJSM_S6_EEENSO_IJSE_SE_EEES6_PlJS6_EEE10hipError_tPvRmT3_T4_T5_T6_T7_T9_mT8_P12ihipStream_tbDpT10_ENKUlT_T0_E_clISt17integral_constantIbLb1EES1B_EEDaS16_S17_EUlS16_E_NS1_11comp_targetILNS1_3genE3ELNS1_11target_archE908ELNS1_3gpuE7ELNS1_3repE0EEENS1_30default_config_static_selectorELNS0_4arch9wavefront6targetE1EEEvT1_
		.amdhsa_group_segment_fixed_size 0
		.amdhsa_private_segment_fixed_size 0
		.amdhsa_kernarg_size 136
		.amdhsa_user_sgpr_count 6
		.amdhsa_user_sgpr_private_segment_buffer 1
		.amdhsa_user_sgpr_dispatch_ptr 0
		.amdhsa_user_sgpr_queue_ptr 0
		.amdhsa_user_sgpr_kernarg_segment_ptr 1
		.amdhsa_user_sgpr_dispatch_id 0
		.amdhsa_user_sgpr_flat_scratch_init 0
		.amdhsa_user_sgpr_kernarg_preload_length 0
		.amdhsa_user_sgpr_kernarg_preload_offset 0
		.amdhsa_user_sgpr_private_segment_size 0
		.amdhsa_uses_dynamic_stack 0
		.amdhsa_system_sgpr_private_segment_wavefront_offset 0
		.amdhsa_system_sgpr_workgroup_id_x 1
		.amdhsa_system_sgpr_workgroup_id_y 0
		.amdhsa_system_sgpr_workgroup_id_z 0
		.amdhsa_system_sgpr_workgroup_info 0
		.amdhsa_system_vgpr_workitem_id 0
		.amdhsa_next_free_vgpr 1
		.amdhsa_next_free_sgpr 0
		.amdhsa_accum_offset 4
		.amdhsa_reserve_vcc 0
		.amdhsa_reserve_flat_scratch 0
		.amdhsa_float_round_mode_32 0
		.amdhsa_float_round_mode_16_64 0
		.amdhsa_float_denorm_mode_32 3
		.amdhsa_float_denorm_mode_16_64 3
		.amdhsa_dx10_clamp 1
		.amdhsa_ieee_mode 1
		.amdhsa_fp16_overflow 0
		.amdhsa_tg_split 0
		.amdhsa_exception_fp_ieee_invalid_op 0
		.amdhsa_exception_fp_denorm_src 0
		.amdhsa_exception_fp_ieee_div_zero 0
		.amdhsa_exception_fp_ieee_overflow 0
		.amdhsa_exception_fp_ieee_underflow 0
		.amdhsa_exception_fp_ieee_inexact 0
		.amdhsa_exception_int_div_zero 0
	.end_amdhsa_kernel
	.section	.text._ZN7rocprim17ROCPRIM_400000_NS6detail17trampoline_kernelINS0_14default_configENS1_25partition_config_selectorILNS1_17partition_subalgoE5EiNS0_10empty_typeEbEEZZNS1_14partition_implILS5_5ELb0ES3_mN6thrust23THRUST_200600_302600_NS17counting_iteratorIiNSA_11use_defaultESC_SC_EEPS6_NSA_18transform_iteratorINSA_8identityIiEENSA_6detail15normal_iteratorINSA_10device_ptrIiEEEESC_SC_EENS0_5tupleIJSM_S6_EEENSO_IJSE_SE_EEES6_PlJS6_EEE10hipError_tPvRmT3_T4_T5_T6_T7_T9_mT8_P12ihipStream_tbDpT10_ENKUlT_T0_E_clISt17integral_constantIbLb1EES1B_EEDaS16_S17_EUlS16_E_NS1_11comp_targetILNS1_3genE3ELNS1_11target_archE908ELNS1_3gpuE7ELNS1_3repE0EEENS1_30default_config_static_selectorELNS0_4arch9wavefront6targetE1EEEvT1_,"axG",@progbits,_ZN7rocprim17ROCPRIM_400000_NS6detail17trampoline_kernelINS0_14default_configENS1_25partition_config_selectorILNS1_17partition_subalgoE5EiNS0_10empty_typeEbEEZZNS1_14partition_implILS5_5ELb0ES3_mN6thrust23THRUST_200600_302600_NS17counting_iteratorIiNSA_11use_defaultESC_SC_EEPS6_NSA_18transform_iteratorINSA_8identityIiEENSA_6detail15normal_iteratorINSA_10device_ptrIiEEEESC_SC_EENS0_5tupleIJSM_S6_EEENSO_IJSE_SE_EEES6_PlJS6_EEE10hipError_tPvRmT3_T4_T5_T6_T7_T9_mT8_P12ihipStream_tbDpT10_ENKUlT_T0_E_clISt17integral_constantIbLb1EES1B_EEDaS16_S17_EUlS16_E_NS1_11comp_targetILNS1_3genE3ELNS1_11target_archE908ELNS1_3gpuE7ELNS1_3repE0EEENS1_30default_config_static_selectorELNS0_4arch9wavefront6targetE1EEEvT1_,comdat
.Lfunc_end22:
	.size	_ZN7rocprim17ROCPRIM_400000_NS6detail17trampoline_kernelINS0_14default_configENS1_25partition_config_selectorILNS1_17partition_subalgoE5EiNS0_10empty_typeEbEEZZNS1_14partition_implILS5_5ELb0ES3_mN6thrust23THRUST_200600_302600_NS17counting_iteratorIiNSA_11use_defaultESC_SC_EEPS6_NSA_18transform_iteratorINSA_8identityIiEENSA_6detail15normal_iteratorINSA_10device_ptrIiEEEESC_SC_EENS0_5tupleIJSM_S6_EEENSO_IJSE_SE_EEES6_PlJS6_EEE10hipError_tPvRmT3_T4_T5_T6_T7_T9_mT8_P12ihipStream_tbDpT10_ENKUlT_T0_E_clISt17integral_constantIbLb1EES1B_EEDaS16_S17_EUlS16_E_NS1_11comp_targetILNS1_3genE3ELNS1_11target_archE908ELNS1_3gpuE7ELNS1_3repE0EEENS1_30default_config_static_selectorELNS0_4arch9wavefront6targetE1EEEvT1_, .Lfunc_end22-_ZN7rocprim17ROCPRIM_400000_NS6detail17trampoline_kernelINS0_14default_configENS1_25partition_config_selectorILNS1_17partition_subalgoE5EiNS0_10empty_typeEbEEZZNS1_14partition_implILS5_5ELb0ES3_mN6thrust23THRUST_200600_302600_NS17counting_iteratorIiNSA_11use_defaultESC_SC_EEPS6_NSA_18transform_iteratorINSA_8identityIiEENSA_6detail15normal_iteratorINSA_10device_ptrIiEEEESC_SC_EENS0_5tupleIJSM_S6_EEENSO_IJSE_SE_EEES6_PlJS6_EEE10hipError_tPvRmT3_T4_T5_T6_T7_T9_mT8_P12ihipStream_tbDpT10_ENKUlT_T0_E_clISt17integral_constantIbLb1EES1B_EEDaS16_S17_EUlS16_E_NS1_11comp_targetILNS1_3genE3ELNS1_11target_archE908ELNS1_3gpuE7ELNS1_3repE0EEENS1_30default_config_static_selectorELNS0_4arch9wavefront6targetE1EEEvT1_
                                        ; -- End function
	.section	.AMDGPU.csdata,"",@progbits
; Kernel info:
; codeLenInByte = 0
; NumSgprs: 4
; NumVgprs: 0
; NumAgprs: 0
; TotalNumVgprs: 0
; ScratchSize: 0
; MemoryBound: 0
; FloatMode: 240
; IeeeMode: 1
; LDSByteSize: 0 bytes/workgroup (compile time only)
; SGPRBlocks: 0
; VGPRBlocks: 0
; NumSGPRsForWavesPerEU: 4
; NumVGPRsForWavesPerEU: 1
; AccumOffset: 4
; Occupancy: 8
; WaveLimiterHint : 0
; COMPUTE_PGM_RSRC2:SCRATCH_EN: 0
; COMPUTE_PGM_RSRC2:USER_SGPR: 6
; COMPUTE_PGM_RSRC2:TRAP_HANDLER: 0
; COMPUTE_PGM_RSRC2:TGID_X_EN: 1
; COMPUTE_PGM_RSRC2:TGID_Y_EN: 0
; COMPUTE_PGM_RSRC2:TGID_Z_EN: 0
; COMPUTE_PGM_RSRC2:TIDIG_COMP_CNT: 0
; COMPUTE_PGM_RSRC3_GFX90A:ACCUM_OFFSET: 0
; COMPUTE_PGM_RSRC3_GFX90A:TG_SPLIT: 0
	.section	.text._ZN7rocprim17ROCPRIM_400000_NS6detail17trampoline_kernelINS0_14default_configENS1_25partition_config_selectorILNS1_17partition_subalgoE5EiNS0_10empty_typeEbEEZZNS1_14partition_implILS5_5ELb0ES3_mN6thrust23THRUST_200600_302600_NS17counting_iteratorIiNSA_11use_defaultESC_SC_EEPS6_NSA_18transform_iteratorINSA_8identityIiEENSA_6detail15normal_iteratorINSA_10device_ptrIiEEEESC_SC_EENS0_5tupleIJSM_S6_EEENSO_IJSE_SE_EEES6_PlJS6_EEE10hipError_tPvRmT3_T4_T5_T6_T7_T9_mT8_P12ihipStream_tbDpT10_ENKUlT_T0_E_clISt17integral_constantIbLb1EES1B_EEDaS16_S17_EUlS16_E_NS1_11comp_targetILNS1_3genE2ELNS1_11target_archE906ELNS1_3gpuE6ELNS1_3repE0EEENS1_30default_config_static_selectorELNS0_4arch9wavefront6targetE1EEEvT1_,"axG",@progbits,_ZN7rocprim17ROCPRIM_400000_NS6detail17trampoline_kernelINS0_14default_configENS1_25partition_config_selectorILNS1_17partition_subalgoE5EiNS0_10empty_typeEbEEZZNS1_14partition_implILS5_5ELb0ES3_mN6thrust23THRUST_200600_302600_NS17counting_iteratorIiNSA_11use_defaultESC_SC_EEPS6_NSA_18transform_iteratorINSA_8identityIiEENSA_6detail15normal_iteratorINSA_10device_ptrIiEEEESC_SC_EENS0_5tupleIJSM_S6_EEENSO_IJSE_SE_EEES6_PlJS6_EEE10hipError_tPvRmT3_T4_T5_T6_T7_T9_mT8_P12ihipStream_tbDpT10_ENKUlT_T0_E_clISt17integral_constantIbLb1EES1B_EEDaS16_S17_EUlS16_E_NS1_11comp_targetILNS1_3genE2ELNS1_11target_archE906ELNS1_3gpuE6ELNS1_3repE0EEENS1_30default_config_static_selectorELNS0_4arch9wavefront6targetE1EEEvT1_,comdat
	.protected	_ZN7rocprim17ROCPRIM_400000_NS6detail17trampoline_kernelINS0_14default_configENS1_25partition_config_selectorILNS1_17partition_subalgoE5EiNS0_10empty_typeEbEEZZNS1_14partition_implILS5_5ELb0ES3_mN6thrust23THRUST_200600_302600_NS17counting_iteratorIiNSA_11use_defaultESC_SC_EEPS6_NSA_18transform_iteratorINSA_8identityIiEENSA_6detail15normal_iteratorINSA_10device_ptrIiEEEESC_SC_EENS0_5tupleIJSM_S6_EEENSO_IJSE_SE_EEES6_PlJS6_EEE10hipError_tPvRmT3_T4_T5_T6_T7_T9_mT8_P12ihipStream_tbDpT10_ENKUlT_T0_E_clISt17integral_constantIbLb1EES1B_EEDaS16_S17_EUlS16_E_NS1_11comp_targetILNS1_3genE2ELNS1_11target_archE906ELNS1_3gpuE6ELNS1_3repE0EEENS1_30default_config_static_selectorELNS0_4arch9wavefront6targetE1EEEvT1_ ; -- Begin function _ZN7rocprim17ROCPRIM_400000_NS6detail17trampoline_kernelINS0_14default_configENS1_25partition_config_selectorILNS1_17partition_subalgoE5EiNS0_10empty_typeEbEEZZNS1_14partition_implILS5_5ELb0ES3_mN6thrust23THRUST_200600_302600_NS17counting_iteratorIiNSA_11use_defaultESC_SC_EEPS6_NSA_18transform_iteratorINSA_8identityIiEENSA_6detail15normal_iteratorINSA_10device_ptrIiEEEESC_SC_EENS0_5tupleIJSM_S6_EEENSO_IJSE_SE_EEES6_PlJS6_EEE10hipError_tPvRmT3_T4_T5_T6_T7_T9_mT8_P12ihipStream_tbDpT10_ENKUlT_T0_E_clISt17integral_constantIbLb1EES1B_EEDaS16_S17_EUlS16_E_NS1_11comp_targetILNS1_3genE2ELNS1_11target_archE906ELNS1_3gpuE6ELNS1_3repE0EEENS1_30default_config_static_selectorELNS0_4arch9wavefront6targetE1EEEvT1_
	.globl	_ZN7rocprim17ROCPRIM_400000_NS6detail17trampoline_kernelINS0_14default_configENS1_25partition_config_selectorILNS1_17partition_subalgoE5EiNS0_10empty_typeEbEEZZNS1_14partition_implILS5_5ELb0ES3_mN6thrust23THRUST_200600_302600_NS17counting_iteratorIiNSA_11use_defaultESC_SC_EEPS6_NSA_18transform_iteratorINSA_8identityIiEENSA_6detail15normal_iteratorINSA_10device_ptrIiEEEESC_SC_EENS0_5tupleIJSM_S6_EEENSO_IJSE_SE_EEES6_PlJS6_EEE10hipError_tPvRmT3_T4_T5_T6_T7_T9_mT8_P12ihipStream_tbDpT10_ENKUlT_T0_E_clISt17integral_constantIbLb1EES1B_EEDaS16_S17_EUlS16_E_NS1_11comp_targetILNS1_3genE2ELNS1_11target_archE906ELNS1_3gpuE6ELNS1_3repE0EEENS1_30default_config_static_selectorELNS0_4arch9wavefront6targetE1EEEvT1_
	.p2align	8
	.type	_ZN7rocprim17ROCPRIM_400000_NS6detail17trampoline_kernelINS0_14default_configENS1_25partition_config_selectorILNS1_17partition_subalgoE5EiNS0_10empty_typeEbEEZZNS1_14partition_implILS5_5ELb0ES3_mN6thrust23THRUST_200600_302600_NS17counting_iteratorIiNSA_11use_defaultESC_SC_EEPS6_NSA_18transform_iteratorINSA_8identityIiEENSA_6detail15normal_iteratorINSA_10device_ptrIiEEEESC_SC_EENS0_5tupleIJSM_S6_EEENSO_IJSE_SE_EEES6_PlJS6_EEE10hipError_tPvRmT3_T4_T5_T6_T7_T9_mT8_P12ihipStream_tbDpT10_ENKUlT_T0_E_clISt17integral_constantIbLb1EES1B_EEDaS16_S17_EUlS16_E_NS1_11comp_targetILNS1_3genE2ELNS1_11target_archE906ELNS1_3gpuE6ELNS1_3repE0EEENS1_30default_config_static_selectorELNS0_4arch9wavefront6targetE1EEEvT1_,@function
_ZN7rocprim17ROCPRIM_400000_NS6detail17trampoline_kernelINS0_14default_configENS1_25partition_config_selectorILNS1_17partition_subalgoE5EiNS0_10empty_typeEbEEZZNS1_14partition_implILS5_5ELb0ES3_mN6thrust23THRUST_200600_302600_NS17counting_iteratorIiNSA_11use_defaultESC_SC_EEPS6_NSA_18transform_iteratorINSA_8identityIiEENSA_6detail15normal_iteratorINSA_10device_ptrIiEEEESC_SC_EENS0_5tupleIJSM_S6_EEENSO_IJSE_SE_EEES6_PlJS6_EEE10hipError_tPvRmT3_T4_T5_T6_T7_T9_mT8_P12ihipStream_tbDpT10_ENKUlT_T0_E_clISt17integral_constantIbLb1EES1B_EEDaS16_S17_EUlS16_E_NS1_11comp_targetILNS1_3genE2ELNS1_11target_archE906ELNS1_3gpuE6ELNS1_3repE0EEENS1_30default_config_static_selectorELNS0_4arch9wavefront6targetE1EEEvT1_: ; @_ZN7rocprim17ROCPRIM_400000_NS6detail17trampoline_kernelINS0_14default_configENS1_25partition_config_selectorILNS1_17partition_subalgoE5EiNS0_10empty_typeEbEEZZNS1_14partition_implILS5_5ELb0ES3_mN6thrust23THRUST_200600_302600_NS17counting_iteratorIiNSA_11use_defaultESC_SC_EEPS6_NSA_18transform_iteratorINSA_8identityIiEENSA_6detail15normal_iteratorINSA_10device_ptrIiEEEESC_SC_EENS0_5tupleIJSM_S6_EEENSO_IJSE_SE_EEES6_PlJS6_EEE10hipError_tPvRmT3_T4_T5_T6_T7_T9_mT8_P12ihipStream_tbDpT10_ENKUlT_T0_E_clISt17integral_constantIbLb1EES1B_EEDaS16_S17_EUlS16_E_NS1_11comp_targetILNS1_3genE2ELNS1_11target_archE906ELNS1_3gpuE6ELNS1_3repE0EEENS1_30default_config_static_selectorELNS0_4arch9wavefront6targetE1EEEvT1_
; %bb.0:
	.section	.rodata,"a",@progbits
	.p2align	6, 0x0
	.amdhsa_kernel _ZN7rocprim17ROCPRIM_400000_NS6detail17trampoline_kernelINS0_14default_configENS1_25partition_config_selectorILNS1_17partition_subalgoE5EiNS0_10empty_typeEbEEZZNS1_14partition_implILS5_5ELb0ES3_mN6thrust23THRUST_200600_302600_NS17counting_iteratorIiNSA_11use_defaultESC_SC_EEPS6_NSA_18transform_iteratorINSA_8identityIiEENSA_6detail15normal_iteratorINSA_10device_ptrIiEEEESC_SC_EENS0_5tupleIJSM_S6_EEENSO_IJSE_SE_EEES6_PlJS6_EEE10hipError_tPvRmT3_T4_T5_T6_T7_T9_mT8_P12ihipStream_tbDpT10_ENKUlT_T0_E_clISt17integral_constantIbLb1EES1B_EEDaS16_S17_EUlS16_E_NS1_11comp_targetILNS1_3genE2ELNS1_11target_archE906ELNS1_3gpuE6ELNS1_3repE0EEENS1_30default_config_static_selectorELNS0_4arch9wavefront6targetE1EEEvT1_
		.amdhsa_group_segment_fixed_size 0
		.amdhsa_private_segment_fixed_size 0
		.amdhsa_kernarg_size 136
		.amdhsa_user_sgpr_count 6
		.amdhsa_user_sgpr_private_segment_buffer 1
		.amdhsa_user_sgpr_dispatch_ptr 0
		.amdhsa_user_sgpr_queue_ptr 0
		.amdhsa_user_sgpr_kernarg_segment_ptr 1
		.amdhsa_user_sgpr_dispatch_id 0
		.amdhsa_user_sgpr_flat_scratch_init 0
		.amdhsa_user_sgpr_kernarg_preload_length 0
		.amdhsa_user_sgpr_kernarg_preload_offset 0
		.amdhsa_user_sgpr_private_segment_size 0
		.amdhsa_uses_dynamic_stack 0
		.amdhsa_system_sgpr_private_segment_wavefront_offset 0
		.amdhsa_system_sgpr_workgroup_id_x 1
		.amdhsa_system_sgpr_workgroup_id_y 0
		.amdhsa_system_sgpr_workgroup_id_z 0
		.amdhsa_system_sgpr_workgroup_info 0
		.amdhsa_system_vgpr_workitem_id 0
		.amdhsa_next_free_vgpr 1
		.amdhsa_next_free_sgpr 0
		.amdhsa_accum_offset 4
		.amdhsa_reserve_vcc 0
		.amdhsa_reserve_flat_scratch 0
		.amdhsa_float_round_mode_32 0
		.amdhsa_float_round_mode_16_64 0
		.amdhsa_float_denorm_mode_32 3
		.amdhsa_float_denorm_mode_16_64 3
		.amdhsa_dx10_clamp 1
		.amdhsa_ieee_mode 1
		.amdhsa_fp16_overflow 0
		.amdhsa_tg_split 0
		.amdhsa_exception_fp_ieee_invalid_op 0
		.amdhsa_exception_fp_denorm_src 0
		.amdhsa_exception_fp_ieee_div_zero 0
		.amdhsa_exception_fp_ieee_overflow 0
		.amdhsa_exception_fp_ieee_underflow 0
		.amdhsa_exception_fp_ieee_inexact 0
		.amdhsa_exception_int_div_zero 0
	.end_amdhsa_kernel
	.section	.text._ZN7rocprim17ROCPRIM_400000_NS6detail17trampoline_kernelINS0_14default_configENS1_25partition_config_selectorILNS1_17partition_subalgoE5EiNS0_10empty_typeEbEEZZNS1_14partition_implILS5_5ELb0ES3_mN6thrust23THRUST_200600_302600_NS17counting_iteratorIiNSA_11use_defaultESC_SC_EEPS6_NSA_18transform_iteratorINSA_8identityIiEENSA_6detail15normal_iteratorINSA_10device_ptrIiEEEESC_SC_EENS0_5tupleIJSM_S6_EEENSO_IJSE_SE_EEES6_PlJS6_EEE10hipError_tPvRmT3_T4_T5_T6_T7_T9_mT8_P12ihipStream_tbDpT10_ENKUlT_T0_E_clISt17integral_constantIbLb1EES1B_EEDaS16_S17_EUlS16_E_NS1_11comp_targetILNS1_3genE2ELNS1_11target_archE906ELNS1_3gpuE6ELNS1_3repE0EEENS1_30default_config_static_selectorELNS0_4arch9wavefront6targetE1EEEvT1_,"axG",@progbits,_ZN7rocprim17ROCPRIM_400000_NS6detail17trampoline_kernelINS0_14default_configENS1_25partition_config_selectorILNS1_17partition_subalgoE5EiNS0_10empty_typeEbEEZZNS1_14partition_implILS5_5ELb0ES3_mN6thrust23THRUST_200600_302600_NS17counting_iteratorIiNSA_11use_defaultESC_SC_EEPS6_NSA_18transform_iteratorINSA_8identityIiEENSA_6detail15normal_iteratorINSA_10device_ptrIiEEEESC_SC_EENS0_5tupleIJSM_S6_EEENSO_IJSE_SE_EEES6_PlJS6_EEE10hipError_tPvRmT3_T4_T5_T6_T7_T9_mT8_P12ihipStream_tbDpT10_ENKUlT_T0_E_clISt17integral_constantIbLb1EES1B_EEDaS16_S17_EUlS16_E_NS1_11comp_targetILNS1_3genE2ELNS1_11target_archE906ELNS1_3gpuE6ELNS1_3repE0EEENS1_30default_config_static_selectorELNS0_4arch9wavefront6targetE1EEEvT1_,comdat
.Lfunc_end23:
	.size	_ZN7rocprim17ROCPRIM_400000_NS6detail17trampoline_kernelINS0_14default_configENS1_25partition_config_selectorILNS1_17partition_subalgoE5EiNS0_10empty_typeEbEEZZNS1_14partition_implILS5_5ELb0ES3_mN6thrust23THRUST_200600_302600_NS17counting_iteratorIiNSA_11use_defaultESC_SC_EEPS6_NSA_18transform_iteratorINSA_8identityIiEENSA_6detail15normal_iteratorINSA_10device_ptrIiEEEESC_SC_EENS0_5tupleIJSM_S6_EEENSO_IJSE_SE_EEES6_PlJS6_EEE10hipError_tPvRmT3_T4_T5_T6_T7_T9_mT8_P12ihipStream_tbDpT10_ENKUlT_T0_E_clISt17integral_constantIbLb1EES1B_EEDaS16_S17_EUlS16_E_NS1_11comp_targetILNS1_3genE2ELNS1_11target_archE906ELNS1_3gpuE6ELNS1_3repE0EEENS1_30default_config_static_selectorELNS0_4arch9wavefront6targetE1EEEvT1_, .Lfunc_end23-_ZN7rocprim17ROCPRIM_400000_NS6detail17trampoline_kernelINS0_14default_configENS1_25partition_config_selectorILNS1_17partition_subalgoE5EiNS0_10empty_typeEbEEZZNS1_14partition_implILS5_5ELb0ES3_mN6thrust23THRUST_200600_302600_NS17counting_iteratorIiNSA_11use_defaultESC_SC_EEPS6_NSA_18transform_iteratorINSA_8identityIiEENSA_6detail15normal_iteratorINSA_10device_ptrIiEEEESC_SC_EENS0_5tupleIJSM_S6_EEENSO_IJSE_SE_EEES6_PlJS6_EEE10hipError_tPvRmT3_T4_T5_T6_T7_T9_mT8_P12ihipStream_tbDpT10_ENKUlT_T0_E_clISt17integral_constantIbLb1EES1B_EEDaS16_S17_EUlS16_E_NS1_11comp_targetILNS1_3genE2ELNS1_11target_archE906ELNS1_3gpuE6ELNS1_3repE0EEENS1_30default_config_static_selectorELNS0_4arch9wavefront6targetE1EEEvT1_
                                        ; -- End function
	.section	.AMDGPU.csdata,"",@progbits
; Kernel info:
; codeLenInByte = 0
; NumSgprs: 4
; NumVgprs: 0
; NumAgprs: 0
; TotalNumVgprs: 0
; ScratchSize: 0
; MemoryBound: 0
; FloatMode: 240
; IeeeMode: 1
; LDSByteSize: 0 bytes/workgroup (compile time only)
; SGPRBlocks: 0
; VGPRBlocks: 0
; NumSGPRsForWavesPerEU: 4
; NumVGPRsForWavesPerEU: 1
; AccumOffset: 4
; Occupancy: 8
; WaveLimiterHint : 0
; COMPUTE_PGM_RSRC2:SCRATCH_EN: 0
; COMPUTE_PGM_RSRC2:USER_SGPR: 6
; COMPUTE_PGM_RSRC2:TRAP_HANDLER: 0
; COMPUTE_PGM_RSRC2:TGID_X_EN: 1
; COMPUTE_PGM_RSRC2:TGID_Y_EN: 0
; COMPUTE_PGM_RSRC2:TGID_Z_EN: 0
; COMPUTE_PGM_RSRC2:TIDIG_COMP_CNT: 0
; COMPUTE_PGM_RSRC3_GFX90A:ACCUM_OFFSET: 0
; COMPUTE_PGM_RSRC3_GFX90A:TG_SPLIT: 0
	.section	.text._ZN7rocprim17ROCPRIM_400000_NS6detail17trampoline_kernelINS0_14default_configENS1_25partition_config_selectorILNS1_17partition_subalgoE5EiNS0_10empty_typeEbEEZZNS1_14partition_implILS5_5ELb0ES3_mN6thrust23THRUST_200600_302600_NS17counting_iteratorIiNSA_11use_defaultESC_SC_EEPS6_NSA_18transform_iteratorINSA_8identityIiEENSA_6detail15normal_iteratorINSA_10device_ptrIiEEEESC_SC_EENS0_5tupleIJSM_S6_EEENSO_IJSE_SE_EEES6_PlJS6_EEE10hipError_tPvRmT3_T4_T5_T6_T7_T9_mT8_P12ihipStream_tbDpT10_ENKUlT_T0_E_clISt17integral_constantIbLb1EES1B_EEDaS16_S17_EUlS16_E_NS1_11comp_targetILNS1_3genE10ELNS1_11target_archE1200ELNS1_3gpuE4ELNS1_3repE0EEENS1_30default_config_static_selectorELNS0_4arch9wavefront6targetE1EEEvT1_,"axG",@progbits,_ZN7rocprim17ROCPRIM_400000_NS6detail17trampoline_kernelINS0_14default_configENS1_25partition_config_selectorILNS1_17partition_subalgoE5EiNS0_10empty_typeEbEEZZNS1_14partition_implILS5_5ELb0ES3_mN6thrust23THRUST_200600_302600_NS17counting_iteratorIiNSA_11use_defaultESC_SC_EEPS6_NSA_18transform_iteratorINSA_8identityIiEENSA_6detail15normal_iteratorINSA_10device_ptrIiEEEESC_SC_EENS0_5tupleIJSM_S6_EEENSO_IJSE_SE_EEES6_PlJS6_EEE10hipError_tPvRmT3_T4_T5_T6_T7_T9_mT8_P12ihipStream_tbDpT10_ENKUlT_T0_E_clISt17integral_constantIbLb1EES1B_EEDaS16_S17_EUlS16_E_NS1_11comp_targetILNS1_3genE10ELNS1_11target_archE1200ELNS1_3gpuE4ELNS1_3repE0EEENS1_30default_config_static_selectorELNS0_4arch9wavefront6targetE1EEEvT1_,comdat
	.protected	_ZN7rocprim17ROCPRIM_400000_NS6detail17trampoline_kernelINS0_14default_configENS1_25partition_config_selectorILNS1_17partition_subalgoE5EiNS0_10empty_typeEbEEZZNS1_14partition_implILS5_5ELb0ES3_mN6thrust23THRUST_200600_302600_NS17counting_iteratorIiNSA_11use_defaultESC_SC_EEPS6_NSA_18transform_iteratorINSA_8identityIiEENSA_6detail15normal_iteratorINSA_10device_ptrIiEEEESC_SC_EENS0_5tupleIJSM_S6_EEENSO_IJSE_SE_EEES6_PlJS6_EEE10hipError_tPvRmT3_T4_T5_T6_T7_T9_mT8_P12ihipStream_tbDpT10_ENKUlT_T0_E_clISt17integral_constantIbLb1EES1B_EEDaS16_S17_EUlS16_E_NS1_11comp_targetILNS1_3genE10ELNS1_11target_archE1200ELNS1_3gpuE4ELNS1_3repE0EEENS1_30default_config_static_selectorELNS0_4arch9wavefront6targetE1EEEvT1_ ; -- Begin function _ZN7rocprim17ROCPRIM_400000_NS6detail17trampoline_kernelINS0_14default_configENS1_25partition_config_selectorILNS1_17partition_subalgoE5EiNS0_10empty_typeEbEEZZNS1_14partition_implILS5_5ELb0ES3_mN6thrust23THRUST_200600_302600_NS17counting_iteratorIiNSA_11use_defaultESC_SC_EEPS6_NSA_18transform_iteratorINSA_8identityIiEENSA_6detail15normal_iteratorINSA_10device_ptrIiEEEESC_SC_EENS0_5tupleIJSM_S6_EEENSO_IJSE_SE_EEES6_PlJS6_EEE10hipError_tPvRmT3_T4_T5_T6_T7_T9_mT8_P12ihipStream_tbDpT10_ENKUlT_T0_E_clISt17integral_constantIbLb1EES1B_EEDaS16_S17_EUlS16_E_NS1_11comp_targetILNS1_3genE10ELNS1_11target_archE1200ELNS1_3gpuE4ELNS1_3repE0EEENS1_30default_config_static_selectorELNS0_4arch9wavefront6targetE1EEEvT1_
	.globl	_ZN7rocprim17ROCPRIM_400000_NS6detail17trampoline_kernelINS0_14default_configENS1_25partition_config_selectorILNS1_17partition_subalgoE5EiNS0_10empty_typeEbEEZZNS1_14partition_implILS5_5ELb0ES3_mN6thrust23THRUST_200600_302600_NS17counting_iteratorIiNSA_11use_defaultESC_SC_EEPS6_NSA_18transform_iteratorINSA_8identityIiEENSA_6detail15normal_iteratorINSA_10device_ptrIiEEEESC_SC_EENS0_5tupleIJSM_S6_EEENSO_IJSE_SE_EEES6_PlJS6_EEE10hipError_tPvRmT3_T4_T5_T6_T7_T9_mT8_P12ihipStream_tbDpT10_ENKUlT_T0_E_clISt17integral_constantIbLb1EES1B_EEDaS16_S17_EUlS16_E_NS1_11comp_targetILNS1_3genE10ELNS1_11target_archE1200ELNS1_3gpuE4ELNS1_3repE0EEENS1_30default_config_static_selectorELNS0_4arch9wavefront6targetE1EEEvT1_
	.p2align	8
	.type	_ZN7rocprim17ROCPRIM_400000_NS6detail17trampoline_kernelINS0_14default_configENS1_25partition_config_selectorILNS1_17partition_subalgoE5EiNS0_10empty_typeEbEEZZNS1_14partition_implILS5_5ELb0ES3_mN6thrust23THRUST_200600_302600_NS17counting_iteratorIiNSA_11use_defaultESC_SC_EEPS6_NSA_18transform_iteratorINSA_8identityIiEENSA_6detail15normal_iteratorINSA_10device_ptrIiEEEESC_SC_EENS0_5tupleIJSM_S6_EEENSO_IJSE_SE_EEES6_PlJS6_EEE10hipError_tPvRmT3_T4_T5_T6_T7_T9_mT8_P12ihipStream_tbDpT10_ENKUlT_T0_E_clISt17integral_constantIbLb1EES1B_EEDaS16_S17_EUlS16_E_NS1_11comp_targetILNS1_3genE10ELNS1_11target_archE1200ELNS1_3gpuE4ELNS1_3repE0EEENS1_30default_config_static_selectorELNS0_4arch9wavefront6targetE1EEEvT1_,@function
_ZN7rocprim17ROCPRIM_400000_NS6detail17trampoline_kernelINS0_14default_configENS1_25partition_config_selectorILNS1_17partition_subalgoE5EiNS0_10empty_typeEbEEZZNS1_14partition_implILS5_5ELb0ES3_mN6thrust23THRUST_200600_302600_NS17counting_iteratorIiNSA_11use_defaultESC_SC_EEPS6_NSA_18transform_iteratorINSA_8identityIiEENSA_6detail15normal_iteratorINSA_10device_ptrIiEEEESC_SC_EENS0_5tupleIJSM_S6_EEENSO_IJSE_SE_EEES6_PlJS6_EEE10hipError_tPvRmT3_T4_T5_T6_T7_T9_mT8_P12ihipStream_tbDpT10_ENKUlT_T0_E_clISt17integral_constantIbLb1EES1B_EEDaS16_S17_EUlS16_E_NS1_11comp_targetILNS1_3genE10ELNS1_11target_archE1200ELNS1_3gpuE4ELNS1_3repE0EEENS1_30default_config_static_selectorELNS0_4arch9wavefront6targetE1EEEvT1_: ; @_ZN7rocprim17ROCPRIM_400000_NS6detail17trampoline_kernelINS0_14default_configENS1_25partition_config_selectorILNS1_17partition_subalgoE5EiNS0_10empty_typeEbEEZZNS1_14partition_implILS5_5ELb0ES3_mN6thrust23THRUST_200600_302600_NS17counting_iteratorIiNSA_11use_defaultESC_SC_EEPS6_NSA_18transform_iteratorINSA_8identityIiEENSA_6detail15normal_iteratorINSA_10device_ptrIiEEEESC_SC_EENS0_5tupleIJSM_S6_EEENSO_IJSE_SE_EEES6_PlJS6_EEE10hipError_tPvRmT3_T4_T5_T6_T7_T9_mT8_P12ihipStream_tbDpT10_ENKUlT_T0_E_clISt17integral_constantIbLb1EES1B_EEDaS16_S17_EUlS16_E_NS1_11comp_targetILNS1_3genE10ELNS1_11target_archE1200ELNS1_3gpuE4ELNS1_3repE0EEENS1_30default_config_static_selectorELNS0_4arch9wavefront6targetE1EEEvT1_
; %bb.0:
	.section	.rodata,"a",@progbits
	.p2align	6, 0x0
	.amdhsa_kernel _ZN7rocprim17ROCPRIM_400000_NS6detail17trampoline_kernelINS0_14default_configENS1_25partition_config_selectorILNS1_17partition_subalgoE5EiNS0_10empty_typeEbEEZZNS1_14partition_implILS5_5ELb0ES3_mN6thrust23THRUST_200600_302600_NS17counting_iteratorIiNSA_11use_defaultESC_SC_EEPS6_NSA_18transform_iteratorINSA_8identityIiEENSA_6detail15normal_iteratorINSA_10device_ptrIiEEEESC_SC_EENS0_5tupleIJSM_S6_EEENSO_IJSE_SE_EEES6_PlJS6_EEE10hipError_tPvRmT3_T4_T5_T6_T7_T9_mT8_P12ihipStream_tbDpT10_ENKUlT_T0_E_clISt17integral_constantIbLb1EES1B_EEDaS16_S17_EUlS16_E_NS1_11comp_targetILNS1_3genE10ELNS1_11target_archE1200ELNS1_3gpuE4ELNS1_3repE0EEENS1_30default_config_static_selectorELNS0_4arch9wavefront6targetE1EEEvT1_
		.amdhsa_group_segment_fixed_size 0
		.amdhsa_private_segment_fixed_size 0
		.amdhsa_kernarg_size 136
		.amdhsa_user_sgpr_count 6
		.amdhsa_user_sgpr_private_segment_buffer 1
		.amdhsa_user_sgpr_dispatch_ptr 0
		.amdhsa_user_sgpr_queue_ptr 0
		.amdhsa_user_sgpr_kernarg_segment_ptr 1
		.amdhsa_user_sgpr_dispatch_id 0
		.amdhsa_user_sgpr_flat_scratch_init 0
		.amdhsa_user_sgpr_kernarg_preload_length 0
		.amdhsa_user_sgpr_kernarg_preload_offset 0
		.amdhsa_user_sgpr_private_segment_size 0
		.amdhsa_uses_dynamic_stack 0
		.amdhsa_system_sgpr_private_segment_wavefront_offset 0
		.amdhsa_system_sgpr_workgroup_id_x 1
		.amdhsa_system_sgpr_workgroup_id_y 0
		.amdhsa_system_sgpr_workgroup_id_z 0
		.amdhsa_system_sgpr_workgroup_info 0
		.amdhsa_system_vgpr_workitem_id 0
		.amdhsa_next_free_vgpr 1
		.amdhsa_next_free_sgpr 0
		.amdhsa_accum_offset 4
		.amdhsa_reserve_vcc 0
		.amdhsa_reserve_flat_scratch 0
		.amdhsa_float_round_mode_32 0
		.amdhsa_float_round_mode_16_64 0
		.amdhsa_float_denorm_mode_32 3
		.amdhsa_float_denorm_mode_16_64 3
		.amdhsa_dx10_clamp 1
		.amdhsa_ieee_mode 1
		.amdhsa_fp16_overflow 0
		.amdhsa_tg_split 0
		.amdhsa_exception_fp_ieee_invalid_op 0
		.amdhsa_exception_fp_denorm_src 0
		.amdhsa_exception_fp_ieee_div_zero 0
		.amdhsa_exception_fp_ieee_overflow 0
		.amdhsa_exception_fp_ieee_underflow 0
		.amdhsa_exception_fp_ieee_inexact 0
		.amdhsa_exception_int_div_zero 0
	.end_amdhsa_kernel
	.section	.text._ZN7rocprim17ROCPRIM_400000_NS6detail17trampoline_kernelINS0_14default_configENS1_25partition_config_selectorILNS1_17partition_subalgoE5EiNS0_10empty_typeEbEEZZNS1_14partition_implILS5_5ELb0ES3_mN6thrust23THRUST_200600_302600_NS17counting_iteratorIiNSA_11use_defaultESC_SC_EEPS6_NSA_18transform_iteratorINSA_8identityIiEENSA_6detail15normal_iteratorINSA_10device_ptrIiEEEESC_SC_EENS0_5tupleIJSM_S6_EEENSO_IJSE_SE_EEES6_PlJS6_EEE10hipError_tPvRmT3_T4_T5_T6_T7_T9_mT8_P12ihipStream_tbDpT10_ENKUlT_T0_E_clISt17integral_constantIbLb1EES1B_EEDaS16_S17_EUlS16_E_NS1_11comp_targetILNS1_3genE10ELNS1_11target_archE1200ELNS1_3gpuE4ELNS1_3repE0EEENS1_30default_config_static_selectorELNS0_4arch9wavefront6targetE1EEEvT1_,"axG",@progbits,_ZN7rocprim17ROCPRIM_400000_NS6detail17trampoline_kernelINS0_14default_configENS1_25partition_config_selectorILNS1_17partition_subalgoE5EiNS0_10empty_typeEbEEZZNS1_14partition_implILS5_5ELb0ES3_mN6thrust23THRUST_200600_302600_NS17counting_iteratorIiNSA_11use_defaultESC_SC_EEPS6_NSA_18transform_iteratorINSA_8identityIiEENSA_6detail15normal_iteratorINSA_10device_ptrIiEEEESC_SC_EENS0_5tupleIJSM_S6_EEENSO_IJSE_SE_EEES6_PlJS6_EEE10hipError_tPvRmT3_T4_T5_T6_T7_T9_mT8_P12ihipStream_tbDpT10_ENKUlT_T0_E_clISt17integral_constantIbLb1EES1B_EEDaS16_S17_EUlS16_E_NS1_11comp_targetILNS1_3genE10ELNS1_11target_archE1200ELNS1_3gpuE4ELNS1_3repE0EEENS1_30default_config_static_selectorELNS0_4arch9wavefront6targetE1EEEvT1_,comdat
.Lfunc_end24:
	.size	_ZN7rocprim17ROCPRIM_400000_NS6detail17trampoline_kernelINS0_14default_configENS1_25partition_config_selectorILNS1_17partition_subalgoE5EiNS0_10empty_typeEbEEZZNS1_14partition_implILS5_5ELb0ES3_mN6thrust23THRUST_200600_302600_NS17counting_iteratorIiNSA_11use_defaultESC_SC_EEPS6_NSA_18transform_iteratorINSA_8identityIiEENSA_6detail15normal_iteratorINSA_10device_ptrIiEEEESC_SC_EENS0_5tupleIJSM_S6_EEENSO_IJSE_SE_EEES6_PlJS6_EEE10hipError_tPvRmT3_T4_T5_T6_T7_T9_mT8_P12ihipStream_tbDpT10_ENKUlT_T0_E_clISt17integral_constantIbLb1EES1B_EEDaS16_S17_EUlS16_E_NS1_11comp_targetILNS1_3genE10ELNS1_11target_archE1200ELNS1_3gpuE4ELNS1_3repE0EEENS1_30default_config_static_selectorELNS0_4arch9wavefront6targetE1EEEvT1_, .Lfunc_end24-_ZN7rocprim17ROCPRIM_400000_NS6detail17trampoline_kernelINS0_14default_configENS1_25partition_config_selectorILNS1_17partition_subalgoE5EiNS0_10empty_typeEbEEZZNS1_14partition_implILS5_5ELb0ES3_mN6thrust23THRUST_200600_302600_NS17counting_iteratorIiNSA_11use_defaultESC_SC_EEPS6_NSA_18transform_iteratorINSA_8identityIiEENSA_6detail15normal_iteratorINSA_10device_ptrIiEEEESC_SC_EENS0_5tupleIJSM_S6_EEENSO_IJSE_SE_EEES6_PlJS6_EEE10hipError_tPvRmT3_T4_T5_T6_T7_T9_mT8_P12ihipStream_tbDpT10_ENKUlT_T0_E_clISt17integral_constantIbLb1EES1B_EEDaS16_S17_EUlS16_E_NS1_11comp_targetILNS1_3genE10ELNS1_11target_archE1200ELNS1_3gpuE4ELNS1_3repE0EEENS1_30default_config_static_selectorELNS0_4arch9wavefront6targetE1EEEvT1_
                                        ; -- End function
	.section	.AMDGPU.csdata,"",@progbits
; Kernel info:
; codeLenInByte = 0
; NumSgprs: 4
; NumVgprs: 0
; NumAgprs: 0
; TotalNumVgprs: 0
; ScratchSize: 0
; MemoryBound: 0
; FloatMode: 240
; IeeeMode: 1
; LDSByteSize: 0 bytes/workgroup (compile time only)
; SGPRBlocks: 0
; VGPRBlocks: 0
; NumSGPRsForWavesPerEU: 4
; NumVGPRsForWavesPerEU: 1
; AccumOffset: 4
; Occupancy: 8
; WaveLimiterHint : 0
; COMPUTE_PGM_RSRC2:SCRATCH_EN: 0
; COMPUTE_PGM_RSRC2:USER_SGPR: 6
; COMPUTE_PGM_RSRC2:TRAP_HANDLER: 0
; COMPUTE_PGM_RSRC2:TGID_X_EN: 1
; COMPUTE_PGM_RSRC2:TGID_Y_EN: 0
; COMPUTE_PGM_RSRC2:TGID_Z_EN: 0
; COMPUTE_PGM_RSRC2:TIDIG_COMP_CNT: 0
; COMPUTE_PGM_RSRC3_GFX90A:ACCUM_OFFSET: 0
; COMPUTE_PGM_RSRC3_GFX90A:TG_SPLIT: 0
	.section	.text._ZN7rocprim17ROCPRIM_400000_NS6detail17trampoline_kernelINS0_14default_configENS1_25partition_config_selectorILNS1_17partition_subalgoE5EiNS0_10empty_typeEbEEZZNS1_14partition_implILS5_5ELb0ES3_mN6thrust23THRUST_200600_302600_NS17counting_iteratorIiNSA_11use_defaultESC_SC_EEPS6_NSA_18transform_iteratorINSA_8identityIiEENSA_6detail15normal_iteratorINSA_10device_ptrIiEEEESC_SC_EENS0_5tupleIJSM_S6_EEENSO_IJSE_SE_EEES6_PlJS6_EEE10hipError_tPvRmT3_T4_T5_T6_T7_T9_mT8_P12ihipStream_tbDpT10_ENKUlT_T0_E_clISt17integral_constantIbLb1EES1B_EEDaS16_S17_EUlS16_E_NS1_11comp_targetILNS1_3genE9ELNS1_11target_archE1100ELNS1_3gpuE3ELNS1_3repE0EEENS1_30default_config_static_selectorELNS0_4arch9wavefront6targetE1EEEvT1_,"axG",@progbits,_ZN7rocprim17ROCPRIM_400000_NS6detail17trampoline_kernelINS0_14default_configENS1_25partition_config_selectorILNS1_17partition_subalgoE5EiNS0_10empty_typeEbEEZZNS1_14partition_implILS5_5ELb0ES3_mN6thrust23THRUST_200600_302600_NS17counting_iteratorIiNSA_11use_defaultESC_SC_EEPS6_NSA_18transform_iteratorINSA_8identityIiEENSA_6detail15normal_iteratorINSA_10device_ptrIiEEEESC_SC_EENS0_5tupleIJSM_S6_EEENSO_IJSE_SE_EEES6_PlJS6_EEE10hipError_tPvRmT3_T4_T5_T6_T7_T9_mT8_P12ihipStream_tbDpT10_ENKUlT_T0_E_clISt17integral_constantIbLb1EES1B_EEDaS16_S17_EUlS16_E_NS1_11comp_targetILNS1_3genE9ELNS1_11target_archE1100ELNS1_3gpuE3ELNS1_3repE0EEENS1_30default_config_static_selectorELNS0_4arch9wavefront6targetE1EEEvT1_,comdat
	.protected	_ZN7rocprim17ROCPRIM_400000_NS6detail17trampoline_kernelINS0_14default_configENS1_25partition_config_selectorILNS1_17partition_subalgoE5EiNS0_10empty_typeEbEEZZNS1_14partition_implILS5_5ELb0ES3_mN6thrust23THRUST_200600_302600_NS17counting_iteratorIiNSA_11use_defaultESC_SC_EEPS6_NSA_18transform_iteratorINSA_8identityIiEENSA_6detail15normal_iteratorINSA_10device_ptrIiEEEESC_SC_EENS0_5tupleIJSM_S6_EEENSO_IJSE_SE_EEES6_PlJS6_EEE10hipError_tPvRmT3_T4_T5_T6_T7_T9_mT8_P12ihipStream_tbDpT10_ENKUlT_T0_E_clISt17integral_constantIbLb1EES1B_EEDaS16_S17_EUlS16_E_NS1_11comp_targetILNS1_3genE9ELNS1_11target_archE1100ELNS1_3gpuE3ELNS1_3repE0EEENS1_30default_config_static_selectorELNS0_4arch9wavefront6targetE1EEEvT1_ ; -- Begin function _ZN7rocprim17ROCPRIM_400000_NS6detail17trampoline_kernelINS0_14default_configENS1_25partition_config_selectorILNS1_17partition_subalgoE5EiNS0_10empty_typeEbEEZZNS1_14partition_implILS5_5ELb0ES3_mN6thrust23THRUST_200600_302600_NS17counting_iteratorIiNSA_11use_defaultESC_SC_EEPS6_NSA_18transform_iteratorINSA_8identityIiEENSA_6detail15normal_iteratorINSA_10device_ptrIiEEEESC_SC_EENS0_5tupleIJSM_S6_EEENSO_IJSE_SE_EEES6_PlJS6_EEE10hipError_tPvRmT3_T4_T5_T6_T7_T9_mT8_P12ihipStream_tbDpT10_ENKUlT_T0_E_clISt17integral_constantIbLb1EES1B_EEDaS16_S17_EUlS16_E_NS1_11comp_targetILNS1_3genE9ELNS1_11target_archE1100ELNS1_3gpuE3ELNS1_3repE0EEENS1_30default_config_static_selectorELNS0_4arch9wavefront6targetE1EEEvT1_
	.globl	_ZN7rocprim17ROCPRIM_400000_NS6detail17trampoline_kernelINS0_14default_configENS1_25partition_config_selectorILNS1_17partition_subalgoE5EiNS0_10empty_typeEbEEZZNS1_14partition_implILS5_5ELb0ES3_mN6thrust23THRUST_200600_302600_NS17counting_iteratorIiNSA_11use_defaultESC_SC_EEPS6_NSA_18transform_iteratorINSA_8identityIiEENSA_6detail15normal_iteratorINSA_10device_ptrIiEEEESC_SC_EENS0_5tupleIJSM_S6_EEENSO_IJSE_SE_EEES6_PlJS6_EEE10hipError_tPvRmT3_T4_T5_T6_T7_T9_mT8_P12ihipStream_tbDpT10_ENKUlT_T0_E_clISt17integral_constantIbLb1EES1B_EEDaS16_S17_EUlS16_E_NS1_11comp_targetILNS1_3genE9ELNS1_11target_archE1100ELNS1_3gpuE3ELNS1_3repE0EEENS1_30default_config_static_selectorELNS0_4arch9wavefront6targetE1EEEvT1_
	.p2align	8
	.type	_ZN7rocprim17ROCPRIM_400000_NS6detail17trampoline_kernelINS0_14default_configENS1_25partition_config_selectorILNS1_17partition_subalgoE5EiNS0_10empty_typeEbEEZZNS1_14partition_implILS5_5ELb0ES3_mN6thrust23THRUST_200600_302600_NS17counting_iteratorIiNSA_11use_defaultESC_SC_EEPS6_NSA_18transform_iteratorINSA_8identityIiEENSA_6detail15normal_iteratorINSA_10device_ptrIiEEEESC_SC_EENS0_5tupleIJSM_S6_EEENSO_IJSE_SE_EEES6_PlJS6_EEE10hipError_tPvRmT3_T4_T5_T6_T7_T9_mT8_P12ihipStream_tbDpT10_ENKUlT_T0_E_clISt17integral_constantIbLb1EES1B_EEDaS16_S17_EUlS16_E_NS1_11comp_targetILNS1_3genE9ELNS1_11target_archE1100ELNS1_3gpuE3ELNS1_3repE0EEENS1_30default_config_static_selectorELNS0_4arch9wavefront6targetE1EEEvT1_,@function
_ZN7rocprim17ROCPRIM_400000_NS6detail17trampoline_kernelINS0_14default_configENS1_25partition_config_selectorILNS1_17partition_subalgoE5EiNS0_10empty_typeEbEEZZNS1_14partition_implILS5_5ELb0ES3_mN6thrust23THRUST_200600_302600_NS17counting_iteratorIiNSA_11use_defaultESC_SC_EEPS6_NSA_18transform_iteratorINSA_8identityIiEENSA_6detail15normal_iteratorINSA_10device_ptrIiEEEESC_SC_EENS0_5tupleIJSM_S6_EEENSO_IJSE_SE_EEES6_PlJS6_EEE10hipError_tPvRmT3_T4_T5_T6_T7_T9_mT8_P12ihipStream_tbDpT10_ENKUlT_T0_E_clISt17integral_constantIbLb1EES1B_EEDaS16_S17_EUlS16_E_NS1_11comp_targetILNS1_3genE9ELNS1_11target_archE1100ELNS1_3gpuE3ELNS1_3repE0EEENS1_30default_config_static_selectorELNS0_4arch9wavefront6targetE1EEEvT1_: ; @_ZN7rocprim17ROCPRIM_400000_NS6detail17trampoline_kernelINS0_14default_configENS1_25partition_config_selectorILNS1_17partition_subalgoE5EiNS0_10empty_typeEbEEZZNS1_14partition_implILS5_5ELb0ES3_mN6thrust23THRUST_200600_302600_NS17counting_iteratorIiNSA_11use_defaultESC_SC_EEPS6_NSA_18transform_iteratorINSA_8identityIiEENSA_6detail15normal_iteratorINSA_10device_ptrIiEEEESC_SC_EENS0_5tupleIJSM_S6_EEENSO_IJSE_SE_EEES6_PlJS6_EEE10hipError_tPvRmT3_T4_T5_T6_T7_T9_mT8_P12ihipStream_tbDpT10_ENKUlT_T0_E_clISt17integral_constantIbLb1EES1B_EEDaS16_S17_EUlS16_E_NS1_11comp_targetILNS1_3genE9ELNS1_11target_archE1100ELNS1_3gpuE3ELNS1_3repE0EEENS1_30default_config_static_selectorELNS0_4arch9wavefront6targetE1EEEvT1_
; %bb.0:
	.section	.rodata,"a",@progbits
	.p2align	6, 0x0
	.amdhsa_kernel _ZN7rocprim17ROCPRIM_400000_NS6detail17trampoline_kernelINS0_14default_configENS1_25partition_config_selectorILNS1_17partition_subalgoE5EiNS0_10empty_typeEbEEZZNS1_14partition_implILS5_5ELb0ES3_mN6thrust23THRUST_200600_302600_NS17counting_iteratorIiNSA_11use_defaultESC_SC_EEPS6_NSA_18transform_iteratorINSA_8identityIiEENSA_6detail15normal_iteratorINSA_10device_ptrIiEEEESC_SC_EENS0_5tupleIJSM_S6_EEENSO_IJSE_SE_EEES6_PlJS6_EEE10hipError_tPvRmT3_T4_T5_T6_T7_T9_mT8_P12ihipStream_tbDpT10_ENKUlT_T0_E_clISt17integral_constantIbLb1EES1B_EEDaS16_S17_EUlS16_E_NS1_11comp_targetILNS1_3genE9ELNS1_11target_archE1100ELNS1_3gpuE3ELNS1_3repE0EEENS1_30default_config_static_selectorELNS0_4arch9wavefront6targetE1EEEvT1_
		.amdhsa_group_segment_fixed_size 0
		.amdhsa_private_segment_fixed_size 0
		.amdhsa_kernarg_size 136
		.amdhsa_user_sgpr_count 6
		.amdhsa_user_sgpr_private_segment_buffer 1
		.amdhsa_user_sgpr_dispatch_ptr 0
		.amdhsa_user_sgpr_queue_ptr 0
		.amdhsa_user_sgpr_kernarg_segment_ptr 1
		.amdhsa_user_sgpr_dispatch_id 0
		.amdhsa_user_sgpr_flat_scratch_init 0
		.amdhsa_user_sgpr_kernarg_preload_length 0
		.amdhsa_user_sgpr_kernarg_preload_offset 0
		.amdhsa_user_sgpr_private_segment_size 0
		.amdhsa_uses_dynamic_stack 0
		.amdhsa_system_sgpr_private_segment_wavefront_offset 0
		.amdhsa_system_sgpr_workgroup_id_x 1
		.amdhsa_system_sgpr_workgroup_id_y 0
		.amdhsa_system_sgpr_workgroup_id_z 0
		.amdhsa_system_sgpr_workgroup_info 0
		.amdhsa_system_vgpr_workitem_id 0
		.amdhsa_next_free_vgpr 1
		.amdhsa_next_free_sgpr 0
		.amdhsa_accum_offset 4
		.amdhsa_reserve_vcc 0
		.amdhsa_reserve_flat_scratch 0
		.amdhsa_float_round_mode_32 0
		.amdhsa_float_round_mode_16_64 0
		.amdhsa_float_denorm_mode_32 3
		.amdhsa_float_denorm_mode_16_64 3
		.amdhsa_dx10_clamp 1
		.amdhsa_ieee_mode 1
		.amdhsa_fp16_overflow 0
		.amdhsa_tg_split 0
		.amdhsa_exception_fp_ieee_invalid_op 0
		.amdhsa_exception_fp_denorm_src 0
		.amdhsa_exception_fp_ieee_div_zero 0
		.amdhsa_exception_fp_ieee_overflow 0
		.amdhsa_exception_fp_ieee_underflow 0
		.amdhsa_exception_fp_ieee_inexact 0
		.amdhsa_exception_int_div_zero 0
	.end_amdhsa_kernel
	.section	.text._ZN7rocprim17ROCPRIM_400000_NS6detail17trampoline_kernelINS0_14default_configENS1_25partition_config_selectorILNS1_17partition_subalgoE5EiNS0_10empty_typeEbEEZZNS1_14partition_implILS5_5ELb0ES3_mN6thrust23THRUST_200600_302600_NS17counting_iteratorIiNSA_11use_defaultESC_SC_EEPS6_NSA_18transform_iteratorINSA_8identityIiEENSA_6detail15normal_iteratorINSA_10device_ptrIiEEEESC_SC_EENS0_5tupleIJSM_S6_EEENSO_IJSE_SE_EEES6_PlJS6_EEE10hipError_tPvRmT3_T4_T5_T6_T7_T9_mT8_P12ihipStream_tbDpT10_ENKUlT_T0_E_clISt17integral_constantIbLb1EES1B_EEDaS16_S17_EUlS16_E_NS1_11comp_targetILNS1_3genE9ELNS1_11target_archE1100ELNS1_3gpuE3ELNS1_3repE0EEENS1_30default_config_static_selectorELNS0_4arch9wavefront6targetE1EEEvT1_,"axG",@progbits,_ZN7rocprim17ROCPRIM_400000_NS6detail17trampoline_kernelINS0_14default_configENS1_25partition_config_selectorILNS1_17partition_subalgoE5EiNS0_10empty_typeEbEEZZNS1_14partition_implILS5_5ELb0ES3_mN6thrust23THRUST_200600_302600_NS17counting_iteratorIiNSA_11use_defaultESC_SC_EEPS6_NSA_18transform_iteratorINSA_8identityIiEENSA_6detail15normal_iteratorINSA_10device_ptrIiEEEESC_SC_EENS0_5tupleIJSM_S6_EEENSO_IJSE_SE_EEES6_PlJS6_EEE10hipError_tPvRmT3_T4_T5_T6_T7_T9_mT8_P12ihipStream_tbDpT10_ENKUlT_T0_E_clISt17integral_constantIbLb1EES1B_EEDaS16_S17_EUlS16_E_NS1_11comp_targetILNS1_3genE9ELNS1_11target_archE1100ELNS1_3gpuE3ELNS1_3repE0EEENS1_30default_config_static_selectorELNS0_4arch9wavefront6targetE1EEEvT1_,comdat
.Lfunc_end25:
	.size	_ZN7rocprim17ROCPRIM_400000_NS6detail17trampoline_kernelINS0_14default_configENS1_25partition_config_selectorILNS1_17partition_subalgoE5EiNS0_10empty_typeEbEEZZNS1_14partition_implILS5_5ELb0ES3_mN6thrust23THRUST_200600_302600_NS17counting_iteratorIiNSA_11use_defaultESC_SC_EEPS6_NSA_18transform_iteratorINSA_8identityIiEENSA_6detail15normal_iteratorINSA_10device_ptrIiEEEESC_SC_EENS0_5tupleIJSM_S6_EEENSO_IJSE_SE_EEES6_PlJS6_EEE10hipError_tPvRmT3_T4_T5_T6_T7_T9_mT8_P12ihipStream_tbDpT10_ENKUlT_T0_E_clISt17integral_constantIbLb1EES1B_EEDaS16_S17_EUlS16_E_NS1_11comp_targetILNS1_3genE9ELNS1_11target_archE1100ELNS1_3gpuE3ELNS1_3repE0EEENS1_30default_config_static_selectorELNS0_4arch9wavefront6targetE1EEEvT1_, .Lfunc_end25-_ZN7rocprim17ROCPRIM_400000_NS6detail17trampoline_kernelINS0_14default_configENS1_25partition_config_selectorILNS1_17partition_subalgoE5EiNS0_10empty_typeEbEEZZNS1_14partition_implILS5_5ELb0ES3_mN6thrust23THRUST_200600_302600_NS17counting_iteratorIiNSA_11use_defaultESC_SC_EEPS6_NSA_18transform_iteratorINSA_8identityIiEENSA_6detail15normal_iteratorINSA_10device_ptrIiEEEESC_SC_EENS0_5tupleIJSM_S6_EEENSO_IJSE_SE_EEES6_PlJS6_EEE10hipError_tPvRmT3_T4_T5_T6_T7_T9_mT8_P12ihipStream_tbDpT10_ENKUlT_T0_E_clISt17integral_constantIbLb1EES1B_EEDaS16_S17_EUlS16_E_NS1_11comp_targetILNS1_3genE9ELNS1_11target_archE1100ELNS1_3gpuE3ELNS1_3repE0EEENS1_30default_config_static_selectorELNS0_4arch9wavefront6targetE1EEEvT1_
                                        ; -- End function
	.section	.AMDGPU.csdata,"",@progbits
; Kernel info:
; codeLenInByte = 0
; NumSgprs: 4
; NumVgprs: 0
; NumAgprs: 0
; TotalNumVgprs: 0
; ScratchSize: 0
; MemoryBound: 0
; FloatMode: 240
; IeeeMode: 1
; LDSByteSize: 0 bytes/workgroup (compile time only)
; SGPRBlocks: 0
; VGPRBlocks: 0
; NumSGPRsForWavesPerEU: 4
; NumVGPRsForWavesPerEU: 1
; AccumOffset: 4
; Occupancy: 8
; WaveLimiterHint : 0
; COMPUTE_PGM_RSRC2:SCRATCH_EN: 0
; COMPUTE_PGM_RSRC2:USER_SGPR: 6
; COMPUTE_PGM_RSRC2:TRAP_HANDLER: 0
; COMPUTE_PGM_RSRC2:TGID_X_EN: 1
; COMPUTE_PGM_RSRC2:TGID_Y_EN: 0
; COMPUTE_PGM_RSRC2:TGID_Z_EN: 0
; COMPUTE_PGM_RSRC2:TIDIG_COMP_CNT: 0
; COMPUTE_PGM_RSRC3_GFX90A:ACCUM_OFFSET: 0
; COMPUTE_PGM_RSRC3_GFX90A:TG_SPLIT: 0
	.section	.text._ZN7rocprim17ROCPRIM_400000_NS6detail17trampoline_kernelINS0_14default_configENS1_25partition_config_selectorILNS1_17partition_subalgoE5EiNS0_10empty_typeEbEEZZNS1_14partition_implILS5_5ELb0ES3_mN6thrust23THRUST_200600_302600_NS17counting_iteratorIiNSA_11use_defaultESC_SC_EEPS6_NSA_18transform_iteratorINSA_8identityIiEENSA_6detail15normal_iteratorINSA_10device_ptrIiEEEESC_SC_EENS0_5tupleIJSM_S6_EEENSO_IJSE_SE_EEES6_PlJS6_EEE10hipError_tPvRmT3_T4_T5_T6_T7_T9_mT8_P12ihipStream_tbDpT10_ENKUlT_T0_E_clISt17integral_constantIbLb1EES1B_EEDaS16_S17_EUlS16_E_NS1_11comp_targetILNS1_3genE8ELNS1_11target_archE1030ELNS1_3gpuE2ELNS1_3repE0EEENS1_30default_config_static_selectorELNS0_4arch9wavefront6targetE1EEEvT1_,"axG",@progbits,_ZN7rocprim17ROCPRIM_400000_NS6detail17trampoline_kernelINS0_14default_configENS1_25partition_config_selectorILNS1_17partition_subalgoE5EiNS0_10empty_typeEbEEZZNS1_14partition_implILS5_5ELb0ES3_mN6thrust23THRUST_200600_302600_NS17counting_iteratorIiNSA_11use_defaultESC_SC_EEPS6_NSA_18transform_iteratorINSA_8identityIiEENSA_6detail15normal_iteratorINSA_10device_ptrIiEEEESC_SC_EENS0_5tupleIJSM_S6_EEENSO_IJSE_SE_EEES6_PlJS6_EEE10hipError_tPvRmT3_T4_T5_T6_T7_T9_mT8_P12ihipStream_tbDpT10_ENKUlT_T0_E_clISt17integral_constantIbLb1EES1B_EEDaS16_S17_EUlS16_E_NS1_11comp_targetILNS1_3genE8ELNS1_11target_archE1030ELNS1_3gpuE2ELNS1_3repE0EEENS1_30default_config_static_selectorELNS0_4arch9wavefront6targetE1EEEvT1_,comdat
	.protected	_ZN7rocprim17ROCPRIM_400000_NS6detail17trampoline_kernelINS0_14default_configENS1_25partition_config_selectorILNS1_17partition_subalgoE5EiNS0_10empty_typeEbEEZZNS1_14partition_implILS5_5ELb0ES3_mN6thrust23THRUST_200600_302600_NS17counting_iteratorIiNSA_11use_defaultESC_SC_EEPS6_NSA_18transform_iteratorINSA_8identityIiEENSA_6detail15normal_iteratorINSA_10device_ptrIiEEEESC_SC_EENS0_5tupleIJSM_S6_EEENSO_IJSE_SE_EEES6_PlJS6_EEE10hipError_tPvRmT3_T4_T5_T6_T7_T9_mT8_P12ihipStream_tbDpT10_ENKUlT_T0_E_clISt17integral_constantIbLb1EES1B_EEDaS16_S17_EUlS16_E_NS1_11comp_targetILNS1_3genE8ELNS1_11target_archE1030ELNS1_3gpuE2ELNS1_3repE0EEENS1_30default_config_static_selectorELNS0_4arch9wavefront6targetE1EEEvT1_ ; -- Begin function _ZN7rocprim17ROCPRIM_400000_NS6detail17trampoline_kernelINS0_14default_configENS1_25partition_config_selectorILNS1_17partition_subalgoE5EiNS0_10empty_typeEbEEZZNS1_14partition_implILS5_5ELb0ES3_mN6thrust23THRUST_200600_302600_NS17counting_iteratorIiNSA_11use_defaultESC_SC_EEPS6_NSA_18transform_iteratorINSA_8identityIiEENSA_6detail15normal_iteratorINSA_10device_ptrIiEEEESC_SC_EENS0_5tupleIJSM_S6_EEENSO_IJSE_SE_EEES6_PlJS6_EEE10hipError_tPvRmT3_T4_T5_T6_T7_T9_mT8_P12ihipStream_tbDpT10_ENKUlT_T0_E_clISt17integral_constantIbLb1EES1B_EEDaS16_S17_EUlS16_E_NS1_11comp_targetILNS1_3genE8ELNS1_11target_archE1030ELNS1_3gpuE2ELNS1_3repE0EEENS1_30default_config_static_selectorELNS0_4arch9wavefront6targetE1EEEvT1_
	.globl	_ZN7rocprim17ROCPRIM_400000_NS6detail17trampoline_kernelINS0_14default_configENS1_25partition_config_selectorILNS1_17partition_subalgoE5EiNS0_10empty_typeEbEEZZNS1_14partition_implILS5_5ELb0ES3_mN6thrust23THRUST_200600_302600_NS17counting_iteratorIiNSA_11use_defaultESC_SC_EEPS6_NSA_18transform_iteratorINSA_8identityIiEENSA_6detail15normal_iteratorINSA_10device_ptrIiEEEESC_SC_EENS0_5tupleIJSM_S6_EEENSO_IJSE_SE_EEES6_PlJS6_EEE10hipError_tPvRmT3_T4_T5_T6_T7_T9_mT8_P12ihipStream_tbDpT10_ENKUlT_T0_E_clISt17integral_constantIbLb1EES1B_EEDaS16_S17_EUlS16_E_NS1_11comp_targetILNS1_3genE8ELNS1_11target_archE1030ELNS1_3gpuE2ELNS1_3repE0EEENS1_30default_config_static_selectorELNS0_4arch9wavefront6targetE1EEEvT1_
	.p2align	8
	.type	_ZN7rocprim17ROCPRIM_400000_NS6detail17trampoline_kernelINS0_14default_configENS1_25partition_config_selectorILNS1_17partition_subalgoE5EiNS0_10empty_typeEbEEZZNS1_14partition_implILS5_5ELb0ES3_mN6thrust23THRUST_200600_302600_NS17counting_iteratorIiNSA_11use_defaultESC_SC_EEPS6_NSA_18transform_iteratorINSA_8identityIiEENSA_6detail15normal_iteratorINSA_10device_ptrIiEEEESC_SC_EENS0_5tupleIJSM_S6_EEENSO_IJSE_SE_EEES6_PlJS6_EEE10hipError_tPvRmT3_T4_T5_T6_T7_T9_mT8_P12ihipStream_tbDpT10_ENKUlT_T0_E_clISt17integral_constantIbLb1EES1B_EEDaS16_S17_EUlS16_E_NS1_11comp_targetILNS1_3genE8ELNS1_11target_archE1030ELNS1_3gpuE2ELNS1_3repE0EEENS1_30default_config_static_selectorELNS0_4arch9wavefront6targetE1EEEvT1_,@function
_ZN7rocprim17ROCPRIM_400000_NS6detail17trampoline_kernelINS0_14default_configENS1_25partition_config_selectorILNS1_17partition_subalgoE5EiNS0_10empty_typeEbEEZZNS1_14partition_implILS5_5ELb0ES3_mN6thrust23THRUST_200600_302600_NS17counting_iteratorIiNSA_11use_defaultESC_SC_EEPS6_NSA_18transform_iteratorINSA_8identityIiEENSA_6detail15normal_iteratorINSA_10device_ptrIiEEEESC_SC_EENS0_5tupleIJSM_S6_EEENSO_IJSE_SE_EEES6_PlJS6_EEE10hipError_tPvRmT3_T4_T5_T6_T7_T9_mT8_P12ihipStream_tbDpT10_ENKUlT_T0_E_clISt17integral_constantIbLb1EES1B_EEDaS16_S17_EUlS16_E_NS1_11comp_targetILNS1_3genE8ELNS1_11target_archE1030ELNS1_3gpuE2ELNS1_3repE0EEENS1_30default_config_static_selectorELNS0_4arch9wavefront6targetE1EEEvT1_: ; @_ZN7rocprim17ROCPRIM_400000_NS6detail17trampoline_kernelINS0_14default_configENS1_25partition_config_selectorILNS1_17partition_subalgoE5EiNS0_10empty_typeEbEEZZNS1_14partition_implILS5_5ELb0ES3_mN6thrust23THRUST_200600_302600_NS17counting_iteratorIiNSA_11use_defaultESC_SC_EEPS6_NSA_18transform_iteratorINSA_8identityIiEENSA_6detail15normal_iteratorINSA_10device_ptrIiEEEESC_SC_EENS0_5tupleIJSM_S6_EEENSO_IJSE_SE_EEES6_PlJS6_EEE10hipError_tPvRmT3_T4_T5_T6_T7_T9_mT8_P12ihipStream_tbDpT10_ENKUlT_T0_E_clISt17integral_constantIbLb1EES1B_EEDaS16_S17_EUlS16_E_NS1_11comp_targetILNS1_3genE8ELNS1_11target_archE1030ELNS1_3gpuE2ELNS1_3repE0EEENS1_30default_config_static_selectorELNS0_4arch9wavefront6targetE1EEEvT1_
; %bb.0:
	.section	.rodata,"a",@progbits
	.p2align	6, 0x0
	.amdhsa_kernel _ZN7rocprim17ROCPRIM_400000_NS6detail17trampoline_kernelINS0_14default_configENS1_25partition_config_selectorILNS1_17partition_subalgoE5EiNS0_10empty_typeEbEEZZNS1_14partition_implILS5_5ELb0ES3_mN6thrust23THRUST_200600_302600_NS17counting_iteratorIiNSA_11use_defaultESC_SC_EEPS6_NSA_18transform_iteratorINSA_8identityIiEENSA_6detail15normal_iteratorINSA_10device_ptrIiEEEESC_SC_EENS0_5tupleIJSM_S6_EEENSO_IJSE_SE_EEES6_PlJS6_EEE10hipError_tPvRmT3_T4_T5_T6_T7_T9_mT8_P12ihipStream_tbDpT10_ENKUlT_T0_E_clISt17integral_constantIbLb1EES1B_EEDaS16_S17_EUlS16_E_NS1_11comp_targetILNS1_3genE8ELNS1_11target_archE1030ELNS1_3gpuE2ELNS1_3repE0EEENS1_30default_config_static_selectorELNS0_4arch9wavefront6targetE1EEEvT1_
		.amdhsa_group_segment_fixed_size 0
		.amdhsa_private_segment_fixed_size 0
		.amdhsa_kernarg_size 136
		.amdhsa_user_sgpr_count 6
		.amdhsa_user_sgpr_private_segment_buffer 1
		.amdhsa_user_sgpr_dispatch_ptr 0
		.amdhsa_user_sgpr_queue_ptr 0
		.amdhsa_user_sgpr_kernarg_segment_ptr 1
		.amdhsa_user_sgpr_dispatch_id 0
		.amdhsa_user_sgpr_flat_scratch_init 0
		.amdhsa_user_sgpr_kernarg_preload_length 0
		.amdhsa_user_sgpr_kernarg_preload_offset 0
		.amdhsa_user_sgpr_private_segment_size 0
		.amdhsa_uses_dynamic_stack 0
		.amdhsa_system_sgpr_private_segment_wavefront_offset 0
		.amdhsa_system_sgpr_workgroup_id_x 1
		.amdhsa_system_sgpr_workgroup_id_y 0
		.amdhsa_system_sgpr_workgroup_id_z 0
		.amdhsa_system_sgpr_workgroup_info 0
		.amdhsa_system_vgpr_workitem_id 0
		.amdhsa_next_free_vgpr 1
		.amdhsa_next_free_sgpr 0
		.amdhsa_accum_offset 4
		.amdhsa_reserve_vcc 0
		.amdhsa_reserve_flat_scratch 0
		.amdhsa_float_round_mode_32 0
		.amdhsa_float_round_mode_16_64 0
		.amdhsa_float_denorm_mode_32 3
		.amdhsa_float_denorm_mode_16_64 3
		.amdhsa_dx10_clamp 1
		.amdhsa_ieee_mode 1
		.amdhsa_fp16_overflow 0
		.amdhsa_tg_split 0
		.amdhsa_exception_fp_ieee_invalid_op 0
		.amdhsa_exception_fp_denorm_src 0
		.amdhsa_exception_fp_ieee_div_zero 0
		.amdhsa_exception_fp_ieee_overflow 0
		.amdhsa_exception_fp_ieee_underflow 0
		.amdhsa_exception_fp_ieee_inexact 0
		.amdhsa_exception_int_div_zero 0
	.end_amdhsa_kernel
	.section	.text._ZN7rocprim17ROCPRIM_400000_NS6detail17trampoline_kernelINS0_14default_configENS1_25partition_config_selectorILNS1_17partition_subalgoE5EiNS0_10empty_typeEbEEZZNS1_14partition_implILS5_5ELb0ES3_mN6thrust23THRUST_200600_302600_NS17counting_iteratorIiNSA_11use_defaultESC_SC_EEPS6_NSA_18transform_iteratorINSA_8identityIiEENSA_6detail15normal_iteratorINSA_10device_ptrIiEEEESC_SC_EENS0_5tupleIJSM_S6_EEENSO_IJSE_SE_EEES6_PlJS6_EEE10hipError_tPvRmT3_T4_T5_T6_T7_T9_mT8_P12ihipStream_tbDpT10_ENKUlT_T0_E_clISt17integral_constantIbLb1EES1B_EEDaS16_S17_EUlS16_E_NS1_11comp_targetILNS1_3genE8ELNS1_11target_archE1030ELNS1_3gpuE2ELNS1_3repE0EEENS1_30default_config_static_selectorELNS0_4arch9wavefront6targetE1EEEvT1_,"axG",@progbits,_ZN7rocprim17ROCPRIM_400000_NS6detail17trampoline_kernelINS0_14default_configENS1_25partition_config_selectorILNS1_17partition_subalgoE5EiNS0_10empty_typeEbEEZZNS1_14partition_implILS5_5ELb0ES3_mN6thrust23THRUST_200600_302600_NS17counting_iteratorIiNSA_11use_defaultESC_SC_EEPS6_NSA_18transform_iteratorINSA_8identityIiEENSA_6detail15normal_iteratorINSA_10device_ptrIiEEEESC_SC_EENS0_5tupleIJSM_S6_EEENSO_IJSE_SE_EEES6_PlJS6_EEE10hipError_tPvRmT3_T4_T5_T6_T7_T9_mT8_P12ihipStream_tbDpT10_ENKUlT_T0_E_clISt17integral_constantIbLb1EES1B_EEDaS16_S17_EUlS16_E_NS1_11comp_targetILNS1_3genE8ELNS1_11target_archE1030ELNS1_3gpuE2ELNS1_3repE0EEENS1_30default_config_static_selectorELNS0_4arch9wavefront6targetE1EEEvT1_,comdat
.Lfunc_end26:
	.size	_ZN7rocprim17ROCPRIM_400000_NS6detail17trampoline_kernelINS0_14default_configENS1_25partition_config_selectorILNS1_17partition_subalgoE5EiNS0_10empty_typeEbEEZZNS1_14partition_implILS5_5ELb0ES3_mN6thrust23THRUST_200600_302600_NS17counting_iteratorIiNSA_11use_defaultESC_SC_EEPS6_NSA_18transform_iteratorINSA_8identityIiEENSA_6detail15normal_iteratorINSA_10device_ptrIiEEEESC_SC_EENS0_5tupleIJSM_S6_EEENSO_IJSE_SE_EEES6_PlJS6_EEE10hipError_tPvRmT3_T4_T5_T6_T7_T9_mT8_P12ihipStream_tbDpT10_ENKUlT_T0_E_clISt17integral_constantIbLb1EES1B_EEDaS16_S17_EUlS16_E_NS1_11comp_targetILNS1_3genE8ELNS1_11target_archE1030ELNS1_3gpuE2ELNS1_3repE0EEENS1_30default_config_static_selectorELNS0_4arch9wavefront6targetE1EEEvT1_, .Lfunc_end26-_ZN7rocprim17ROCPRIM_400000_NS6detail17trampoline_kernelINS0_14default_configENS1_25partition_config_selectorILNS1_17partition_subalgoE5EiNS0_10empty_typeEbEEZZNS1_14partition_implILS5_5ELb0ES3_mN6thrust23THRUST_200600_302600_NS17counting_iteratorIiNSA_11use_defaultESC_SC_EEPS6_NSA_18transform_iteratorINSA_8identityIiEENSA_6detail15normal_iteratorINSA_10device_ptrIiEEEESC_SC_EENS0_5tupleIJSM_S6_EEENSO_IJSE_SE_EEES6_PlJS6_EEE10hipError_tPvRmT3_T4_T5_T6_T7_T9_mT8_P12ihipStream_tbDpT10_ENKUlT_T0_E_clISt17integral_constantIbLb1EES1B_EEDaS16_S17_EUlS16_E_NS1_11comp_targetILNS1_3genE8ELNS1_11target_archE1030ELNS1_3gpuE2ELNS1_3repE0EEENS1_30default_config_static_selectorELNS0_4arch9wavefront6targetE1EEEvT1_
                                        ; -- End function
	.section	.AMDGPU.csdata,"",@progbits
; Kernel info:
; codeLenInByte = 0
; NumSgprs: 4
; NumVgprs: 0
; NumAgprs: 0
; TotalNumVgprs: 0
; ScratchSize: 0
; MemoryBound: 0
; FloatMode: 240
; IeeeMode: 1
; LDSByteSize: 0 bytes/workgroup (compile time only)
; SGPRBlocks: 0
; VGPRBlocks: 0
; NumSGPRsForWavesPerEU: 4
; NumVGPRsForWavesPerEU: 1
; AccumOffset: 4
; Occupancy: 8
; WaveLimiterHint : 0
; COMPUTE_PGM_RSRC2:SCRATCH_EN: 0
; COMPUTE_PGM_RSRC2:USER_SGPR: 6
; COMPUTE_PGM_RSRC2:TRAP_HANDLER: 0
; COMPUTE_PGM_RSRC2:TGID_X_EN: 1
; COMPUTE_PGM_RSRC2:TGID_Y_EN: 0
; COMPUTE_PGM_RSRC2:TGID_Z_EN: 0
; COMPUTE_PGM_RSRC2:TIDIG_COMP_CNT: 0
; COMPUTE_PGM_RSRC3_GFX90A:ACCUM_OFFSET: 0
; COMPUTE_PGM_RSRC3_GFX90A:TG_SPLIT: 0
	.section	.text._ZN7rocprim17ROCPRIM_400000_NS6detail31init_lookback_scan_state_kernelINS1_19lookback_scan_stateImLb1ELb1EEENS1_16block_id_wrapperIjLb0EEEEEvT_jT0_jPNS7_10value_typeE,"axG",@progbits,_ZN7rocprim17ROCPRIM_400000_NS6detail31init_lookback_scan_state_kernelINS1_19lookback_scan_stateImLb1ELb1EEENS1_16block_id_wrapperIjLb0EEEEEvT_jT0_jPNS7_10value_typeE,comdat
	.protected	_ZN7rocprim17ROCPRIM_400000_NS6detail31init_lookback_scan_state_kernelINS1_19lookback_scan_stateImLb1ELb1EEENS1_16block_id_wrapperIjLb0EEEEEvT_jT0_jPNS7_10value_typeE ; -- Begin function _ZN7rocprim17ROCPRIM_400000_NS6detail31init_lookback_scan_state_kernelINS1_19lookback_scan_stateImLb1ELb1EEENS1_16block_id_wrapperIjLb0EEEEEvT_jT0_jPNS7_10value_typeE
	.globl	_ZN7rocprim17ROCPRIM_400000_NS6detail31init_lookback_scan_state_kernelINS1_19lookback_scan_stateImLb1ELb1EEENS1_16block_id_wrapperIjLb0EEEEEvT_jT0_jPNS7_10value_typeE
	.p2align	8
	.type	_ZN7rocprim17ROCPRIM_400000_NS6detail31init_lookback_scan_state_kernelINS1_19lookback_scan_stateImLb1ELb1EEENS1_16block_id_wrapperIjLb0EEEEEvT_jT0_jPNS7_10value_typeE,@function
_ZN7rocprim17ROCPRIM_400000_NS6detail31init_lookback_scan_state_kernelINS1_19lookback_scan_stateImLb1ELb1EEENS1_16block_id_wrapperIjLb0EEEEEvT_jT0_jPNS7_10value_typeE: ; @_ZN7rocprim17ROCPRIM_400000_NS6detail31init_lookback_scan_state_kernelINS1_19lookback_scan_stateImLb1ELb1EEENS1_16block_id_wrapperIjLb0EEEEEvT_jT0_jPNS7_10value_typeE
; %bb.0:
	s_load_dword s7, s[4:5], 0x2c
	s_load_dwordx2 s[2:3], s[4:5], 0x18
	s_load_dwordx2 s[0:1], s[4:5], 0x0
	s_load_dword s12, s[4:5], 0x8
	s_waitcnt lgkmcnt(0)
	s_and_b32 s7, s7, 0xffff
	s_mul_i32 s6, s6, s7
	s_cmp_eq_u64 s[2:3], 0
	v_add_u32_e32 v0, s6, v0
	s_cbranch_scc1 .LBB27_10
; %bb.1:
	s_load_dword s6, s[4:5], 0x10
	s_mov_b32 s7, 0
	s_waitcnt lgkmcnt(0)
	s_cmp_lt_u32 s6, s12
	s_cselect_b32 s4, s6, 0
	v_cmp_eq_u32_e32 vcc, s4, v0
	s_and_saveexec_b64 s[4:5], vcc
	s_cbranch_execz .LBB27_9
; %bb.2:
	s_add_i32 s6, s6, 64
	s_lshl_b64 s[6:7], s[6:7], 4
	s_add_u32 s10, s0, s6
	s_addc_u32 s11, s1, s7
	v_pk_mov_b32 v[2:3], s[10:11], s[10:11] op_sel:[0,1]
	;;#ASMSTART
	global_load_dwordx4 v[2:5], v[2:3] off glc	
s_waitcnt vmcnt(0)
	;;#ASMEND
	v_mov_b32_e32 v7, 0
	v_and_b32_e32 v6, 0xff, v4
	s_mov_b64 s[8:9], 0
	v_cmp_eq_u64_e32 vcc, 0, v[6:7]
	s_and_saveexec_b64 s[6:7], vcc
	s_cbranch_execz .LBB27_8
; %bb.3:
	s_mov_b32 s13, 1
	v_pk_mov_b32 v[8:9], s[10:11], s[10:11] op_sel:[0,1]
.LBB27_4:                               ; =>This Loop Header: Depth=1
                                        ;     Child Loop BB27_5 Depth 2
	s_max_u32 s10, s13, 1
.LBB27_5:                               ;   Parent Loop BB27_4 Depth=1
                                        ; =>  This Inner Loop Header: Depth=2
	s_add_i32 s10, s10, -1
	s_cmp_eq_u32 s10, 0
	s_sleep 1
	s_cbranch_scc0 .LBB27_5
; %bb.6:                                ;   in Loop: Header=BB27_4 Depth=1
	s_cmp_lt_u32 s13, 32
	s_cselect_b64 s[10:11], -1, 0
	s_cmp_lg_u64 s[10:11], 0
	;;#ASMSTART
	global_load_dwordx4 v[2:5], v[8:9] off glc	
s_waitcnt vmcnt(0)
	;;#ASMEND
	v_and_b32_e32 v6, 0xff, v4
	s_addc_u32 s13, s13, 0
	v_cmp_ne_u64_e32 vcc, 0, v[6:7]
	s_or_b64 s[8:9], vcc, s[8:9]
	s_andn2_b64 exec, exec, s[8:9]
	s_cbranch_execnz .LBB27_4
; %bb.7:
	s_or_b64 exec, exec, s[8:9]
.LBB27_8:
	s_or_b64 exec, exec, s[6:7]
	v_mov_b32_e32 v1, 0
	global_store_dwordx2 v1, v[2:3], s[2:3]
.LBB27_9:
	s_or_b64 exec, exec, s[4:5]
.LBB27_10:
	v_cmp_gt_u32_e32 vcc, s12, v0
	s_and_saveexec_b64 s[2:3], vcc
	s_cbranch_execnz .LBB27_13
; %bb.11:
	s_or_b64 exec, exec, s[2:3]
	v_cmp_gt_u32_e32 vcc, 64, v0
	s_and_saveexec_b64 s[2:3], vcc
	s_cbranch_execnz .LBB27_14
.LBB27_12:
	s_endpgm
.LBB27_13:
	v_add_u32_e32 v2, 64, v0
	v_mov_b32_e32 v3, 0
	v_lshlrev_b64 v[4:5], 4, v[2:3]
	v_mov_b32_e32 v1, s1
	v_add_co_u32_e32 v6, vcc, s0, v4
	v_addc_co_u32_e32 v7, vcc, v1, v5, vcc
	v_mov_b32_e32 v2, v3
	v_mov_b32_e32 v4, v3
	;; [unrolled: 1-line block ×3, first 2 shown]
	global_store_dwordx4 v[6:7], v[2:5], off
	s_or_b64 exec, exec, s[2:3]
	v_cmp_gt_u32_e32 vcc, 64, v0
	s_and_saveexec_b64 s[2:3], vcc
	s_cbranch_execz .LBB27_12
.LBB27_14:
	v_mov_b32_e32 v1, 0
	v_lshlrev_b64 v[2:3], 4, v[0:1]
	v_mov_b32_e32 v0, s1
	v_add_co_u32_e32 v4, vcc, s0, v2
	v_addc_co_u32_e32 v5, vcc, v0, v3, vcc
	v_mov_b32_e32 v2, 0xff
	v_mov_b32_e32 v0, v1
	;; [unrolled: 1-line block ×3, first 2 shown]
	global_store_dwordx4 v[4:5], v[0:3], off
	s_endpgm
	.section	.rodata,"a",@progbits
	.p2align	6, 0x0
	.amdhsa_kernel _ZN7rocprim17ROCPRIM_400000_NS6detail31init_lookback_scan_state_kernelINS1_19lookback_scan_stateImLb1ELb1EEENS1_16block_id_wrapperIjLb0EEEEEvT_jT0_jPNS7_10value_typeE
		.amdhsa_group_segment_fixed_size 0
		.amdhsa_private_segment_fixed_size 0
		.amdhsa_kernarg_size 288
		.amdhsa_user_sgpr_count 6
		.amdhsa_user_sgpr_private_segment_buffer 1
		.amdhsa_user_sgpr_dispatch_ptr 0
		.amdhsa_user_sgpr_queue_ptr 0
		.amdhsa_user_sgpr_kernarg_segment_ptr 1
		.amdhsa_user_sgpr_dispatch_id 0
		.amdhsa_user_sgpr_flat_scratch_init 0
		.amdhsa_user_sgpr_kernarg_preload_length 0
		.amdhsa_user_sgpr_kernarg_preload_offset 0
		.amdhsa_user_sgpr_private_segment_size 0
		.amdhsa_uses_dynamic_stack 0
		.amdhsa_system_sgpr_private_segment_wavefront_offset 0
		.amdhsa_system_sgpr_workgroup_id_x 1
		.amdhsa_system_sgpr_workgroup_id_y 0
		.amdhsa_system_sgpr_workgroup_id_z 0
		.amdhsa_system_sgpr_workgroup_info 0
		.amdhsa_system_vgpr_workitem_id 0
		.amdhsa_next_free_vgpr 10
		.amdhsa_next_free_sgpr 14
		.amdhsa_accum_offset 12
		.amdhsa_reserve_vcc 1
		.amdhsa_reserve_flat_scratch 0
		.amdhsa_float_round_mode_32 0
		.amdhsa_float_round_mode_16_64 0
		.amdhsa_float_denorm_mode_32 3
		.amdhsa_float_denorm_mode_16_64 3
		.amdhsa_dx10_clamp 1
		.amdhsa_ieee_mode 1
		.amdhsa_fp16_overflow 0
		.amdhsa_tg_split 0
		.amdhsa_exception_fp_ieee_invalid_op 0
		.amdhsa_exception_fp_denorm_src 0
		.amdhsa_exception_fp_ieee_div_zero 0
		.amdhsa_exception_fp_ieee_overflow 0
		.amdhsa_exception_fp_ieee_underflow 0
		.amdhsa_exception_fp_ieee_inexact 0
		.amdhsa_exception_int_div_zero 0
	.end_amdhsa_kernel
	.section	.text._ZN7rocprim17ROCPRIM_400000_NS6detail31init_lookback_scan_state_kernelINS1_19lookback_scan_stateImLb1ELb1EEENS1_16block_id_wrapperIjLb0EEEEEvT_jT0_jPNS7_10value_typeE,"axG",@progbits,_ZN7rocprim17ROCPRIM_400000_NS6detail31init_lookback_scan_state_kernelINS1_19lookback_scan_stateImLb1ELb1EEENS1_16block_id_wrapperIjLb0EEEEEvT_jT0_jPNS7_10value_typeE,comdat
.Lfunc_end27:
	.size	_ZN7rocprim17ROCPRIM_400000_NS6detail31init_lookback_scan_state_kernelINS1_19lookback_scan_stateImLb1ELb1EEENS1_16block_id_wrapperIjLb0EEEEEvT_jT0_jPNS7_10value_typeE, .Lfunc_end27-_ZN7rocprim17ROCPRIM_400000_NS6detail31init_lookback_scan_state_kernelINS1_19lookback_scan_stateImLb1ELb1EEENS1_16block_id_wrapperIjLb0EEEEEvT_jT0_jPNS7_10value_typeE
                                        ; -- End function
	.section	.AMDGPU.csdata,"",@progbits
; Kernel info:
; codeLenInByte = 424
; NumSgprs: 18
; NumVgprs: 10
; NumAgprs: 0
; TotalNumVgprs: 10
; ScratchSize: 0
; MemoryBound: 0
; FloatMode: 240
; IeeeMode: 1
; LDSByteSize: 0 bytes/workgroup (compile time only)
; SGPRBlocks: 2
; VGPRBlocks: 1
; NumSGPRsForWavesPerEU: 18
; NumVGPRsForWavesPerEU: 10
; AccumOffset: 12
; Occupancy: 8
; WaveLimiterHint : 0
; COMPUTE_PGM_RSRC2:SCRATCH_EN: 0
; COMPUTE_PGM_RSRC2:USER_SGPR: 6
; COMPUTE_PGM_RSRC2:TRAP_HANDLER: 0
; COMPUTE_PGM_RSRC2:TGID_X_EN: 1
; COMPUTE_PGM_RSRC2:TGID_Y_EN: 0
; COMPUTE_PGM_RSRC2:TGID_Z_EN: 0
; COMPUTE_PGM_RSRC2:TIDIG_COMP_CNT: 0
; COMPUTE_PGM_RSRC3_GFX90A:ACCUM_OFFSET: 2
; COMPUTE_PGM_RSRC3_GFX90A:TG_SPLIT: 0
	.section	.text._ZN7rocprim17ROCPRIM_400000_NS6detail17trampoline_kernelINS0_14default_configENS1_25partition_config_selectorILNS1_17partition_subalgoE5EiNS0_10empty_typeEbEEZZNS1_14partition_implILS5_5ELb0ES3_mN6thrust23THRUST_200600_302600_NS17counting_iteratorIiNSA_11use_defaultESC_SC_EEPS6_NSA_18transform_iteratorINSA_8identityIiEENSA_6detail15normal_iteratorINSA_10device_ptrIiEEEESC_SC_EENS0_5tupleIJSM_S6_EEENSO_IJSE_SE_EEES6_PlJS6_EEE10hipError_tPvRmT3_T4_T5_T6_T7_T9_mT8_P12ihipStream_tbDpT10_ENKUlT_T0_E_clISt17integral_constantIbLb1EES1A_IbLb0EEEEDaS16_S17_EUlS16_E_NS1_11comp_targetILNS1_3genE0ELNS1_11target_archE4294967295ELNS1_3gpuE0ELNS1_3repE0EEENS1_30default_config_static_selectorELNS0_4arch9wavefront6targetE1EEEvT1_,"axG",@progbits,_ZN7rocprim17ROCPRIM_400000_NS6detail17trampoline_kernelINS0_14default_configENS1_25partition_config_selectorILNS1_17partition_subalgoE5EiNS0_10empty_typeEbEEZZNS1_14partition_implILS5_5ELb0ES3_mN6thrust23THRUST_200600_302600_NS17counting_iteratorIiNSA_11use_defaultESC_SC_EEPS6_NSA_18transform_iteratorINSA_8identityIiEENSA_6detail15normal_iteratorINSA_10device_ptrIiEEEESC_SC_EENS0_5tupleIJSM_S6_EEENSO_IJSE_SE_EEES6_PlJS6_EEE10hipError_tPvRmT3_T4_T5_T6_T7_T9_mT8_P12ihipStream_tbDpT10_ENKUlT_T0_E_clISt17integral_constantIbLb1EES1A_IbLb0EEEEDaS16_S17_EUlS16_E_NS1_11comp_targetILNS1_3genE0ELNS1_11target_archE4294967295ELNS1_3gpuE0ELNS1_3repE0EEENS1_30default_config_static_selectorELNS0_4arch9wavefront6targetE1EEEvT1_,comdat
	.protected	_ZN7rocprim17ROCPRIM_400000_NS6detail17trampoline_kernelINS0_14default_configENS1_25partition_config_selectorILNS1_17partition_subalgoE5EiNS0_10empty_typeEbEEZZNS1_14partition_implILS5_5ELb0ES3_mN6thrust23THRUST_200600_302600_NS17counting_iteratorIiNSA_11use_defaultESC_SC_EEPS6_NSA_18transform_iteratorINSA_8identityIiEENSA_6detail15normal_iteratorINSA_10device_ptrIiEEEESC_SC_EENS0_5tupleIJSM_S6_EEENSO_IJSE_SE_EEES6_PlJS6_EEE10hipError_tPvRmT3_T4_T5_T6_T7_T9_mT8_P12ihipStream_tbDpT10_ENKUlT_T0_E_clISt17integral_constantIbLb1EES1A_IbLb0EEEEDaS16_S17_EUlS16_E_NS1_11comp_targetILNS1_3genE0ELNS1_11target_archE4294967295ELNS1_3gpuE0ELNS1_3repE0EEENS1_30default_config_static_selectorELNS0_4arch9wavefront6targetE1EEEvT1_ ; -- Begin function _ZN7rocprim17ROCPRIM_400000_NS6detail17trampoline_kernelINS0_14default_configENS1_25partition_config_selectorILNS1_17partition_subalgoE5EiNS0_10empty_typeEbEEZZNS1_14partition_implILS5_5ELb0ES3_mN6thrust23THRUST_200600_302600_NS17counting_iteratorIiNSA_11use_defaultESC_SC_EEPS6_NSA_18transform_iteratorINSA_8identityIiEENSA_6detail15normal_iteratorINSA_10device_ptrIiEEEESC_SC_EENS0_5tupleIJSM_S6_EEENSO_IJSE_SE_EEES6_PlJS6_EEE10hipError_tPvRmT3_T4_T5_T6_T7_T9_mT8_P12ihipStream_tbDpT10_ENKUlT_T0_E_clISt17integral_constantIbLb1EES1A_IbLb0EEEEDaS16_S17_EUlS16_E_NS1_11comp_targetILNS1_3genE0ELNS1_11target_archE4294967295ELNS1_3gpuE0ELNS1_3repE0EEENS1_30default_config_static_selectorELNS0_4arch9wavefront6targetE1EEEvT1_
	.globl	_ZN7rocprim17ROCPRIM_400000_NS6detail17trampoline_kernelINS0_14default_configENS1_25partition_config_selectorILNS1_17partition_subalgoE5EiNS0_10empty_typeEbEEZZNS1_14partition_implILS5_5ELb0ES3_mN6thrust23THRUST_200600_302600_NS17counting_iteratorIiNSA_11use_defaultESC_SC_EEPS6_NSA_18transform_iteratorINSA_8identityIiEENSA_6detail15normal_iteratorINSA_10device_ptrIiEEEESC_SC_EENS0_5tupleIJSM_S6_EEENSO_IJSE_SE_EEES6_PlJS6_EEE10hipError_tPvRmT3_T4_T5_T6_T7_T9_mT8_P12ihipStream_tbDpT10_ENKUlT_T0_E_clISt17integral_constantIbLb1EES1A_IbLb0EEEEDaS16_S17_EUlS16_E_NS1_11comp_targetILNS1_3genE0ELNS1_11target_archE4294967295ELNS1_3gpuE0ELNS1_3repE0EEENS1_30default_config_static_selectorELNS0_4arch9wavefront6targetE1EEEvT1_
	.p2align	8
	.type	_ZN7rocprim17ROCPRIM_400000_NS6detail17trampoline_kernelINS0_14default_configENS1_25partition_config_selectorILNS1_17partition_subalgoE5EiNS0_10empty_typeEbEEZZNS1_14partition_implILS5_5ELb0ES3_mN6thrust23THRUST_200600_302600_NS17counting_iteratorIiNSA_11use_defaultESC_SC_EEPS6_NSA_18transform_iteratorINSA_8identityIiEENSA_6detail15normal_iteratorINSA_10device_ptrIiEEEESC_SC_EENS0_5tupleIJSM_S6_EEENSO_IJSE_SE_EEES6_PlJS6_EEE10hipError_tPvRmT3_T4_T5_T6_T7_T9_mT8_P12ihipStream_tbDpT10_ENKUlT_T0_E_clISt17integral_constantIbLb1EES1A_IbLb0EEEEDaS16_S17_EUlS16_E_NS1_11comp_targetILNS1_3genE0ELNS1_11target_archE4294967295ELNS1_3gpuE0ELNS1_3repE0EEENS1_30default_config_static_selectorELNS0_4arch9wavefront6targetE1EEEvT1_,@function
_ZN7rocprim17ROCPRIM_400000_NS6detail17trampoline_kernelINS0_14default_configENS1_25partition_config_selectorILNS1_17partition_subalgoE5EiNS0_10empty_typeEbEEZZNS1_14partition_implILS5_5ELb0ES3_mN6thrust23THRUST_200600_302600_NS17counting_iteratorIiNSA_11use_defaultESC_SC_EEPS6_NSA_18transform_iteratorINSA_8identityIiEENSA_6detail15normal_iteratorINSA_10device_ptrIiEEEESC_SC_EENS0_5tupleIJSM_S6_EEENSO_IJSE_SE_EEES6_PlJS6_EEE10hipError_tPvRmT3_T4_T5_T6_T7_T9_mT8_P12ihipStream_tbDpT10_ENKUlT_T0_E_clISt17integral_constantIbLb1EES1A_IbLb0EEEEDaS16_S17_EUlS16_E_NS1_11comp_targetILNS1_3genE0ELNS1_11target_archE4294967295ELNS1_3gpuE0ELNS1_3repE0EEENS1_30default_config_static_selectorELNS0_4arch9wavefront6targetE1EEEvT1_: ; @_ZN7rocprim17ROCPRIM_400000_NS6detail17trampoline_kernelINS0_14default_configENS1_25partition_config_selectorILNS1_17partition_subalgoE5EiNS0_10empty_typeEbEEZZNS1_14partition_implILS5_5ELb0ES3_mN6thrust23THRUST_200600_302600_NS17counting_iteratorIiNSA_11use_defaultESC_SC_EEPS6_NSA_18transform_iteratorINSA_8identityIiEENSA_6detail15normal_iteratorINSA_10device_ptrIiEEEESC_SC_EENS0_5tupleIJSM_S6_EEENSO_IJSE_SE_EEES6_PlJS6_EEE10hipError_tPvRmT3_T4_T5_T6_T7_T9_mT8_P12ihipStream_tbDpT10_ENKUlT_T0_E_clISt17integral_constantIbLb1EES1A_IbLb0EEEEDaS16_S17_EUlS16_E_NS1_11comp_targetILNS1_3genE0ELNS1_11target_archE4294967295ELNS1_3gpuE0ELNS1_3repE0EEENS1_30default_config_static_selectorELNS0_4arch9wavefront6targetE1EEEvT1_
; %bb.0:
	.section	.rodata,"a",@progbits
	.p2align	6, 0x0
	.amdhsa_kernel _ZN7rocprim17ROCPRIM_400000_NS6detail17trampoline_kernelINS0_14default_configENS1_25partition_config_selectorILNS1_17partition_subalgoE5EiNS0_10empty_typeEbEEZZNS1_14partition_implILS5_5ELb0ES3_mN6thrust23THRUST_200600_302600_NS17counting_iteratorIiNSA_11use_defaultESC_SC_EEPS6_NSA_18transform_iteratorINSA_8identityIiEENSA_6detail15normal_iteratorINSA_10device_ptrIiEEEESC_SC_EENS0_5tupleIJSM_S6_EEENSO_IJSE_SE_EEES6_PlJS6_EEE10hipError_tPvRmT3_T4_T5_T6_T7_T9_mT8_P12ihipStream_tbDpT10_ENKUlT_T0_E_clISt17integral_constantIbLb1EES1A_IbLb0EEEEDaS16_S17_EUlS16_E_NS1_11comp_targetILNS1_3genE0ELNS1_11target_archE4294967295ELNS1_3gpuE0ELNS1_3repE0EEENS1_30default_config_static_selectorELNS0_4arch9wavefront6targetE1EEEvT1_
		.amdhsa_group_segment_fixed_size 0
		.amdhsa_private_segment_fixed_size 0
		.amdhsa_kernarg_size 120
		.amdhsa_user_sgpr_count 6
		.amdhsa_user_sgpr_private_segment_buffer 1
		.amdhsa_user_sgpr_dispatch_ptr 0
		.amdhsa_user_sgpr_queue_ptr 0
		.amdhsa_user_sgpr_kernarg_segment_ptr 1
		.amdhsa_user_sgpr_dispatch_id 0
		.amdhsa_user_sgpr_flat_scratch_init 0
		.amdhsa_user_sgpr_kernarg_preload_length 0
		.amdhsa_user_sgpr_kernarg_preload_offset 0
		.amdhsa_user_sgpr_private_segment_size 0
		.amdhsa_uses_dynamic_stack 0
		.amdhsa_system_sgpr_private_segment_wavefront_offset 0
		.amdhsa_system_sgpr_workgroup_id_x 1
		.amdhsa_system_sgpr_workgroup_id_y 0
		.amdhsa_system_sgpr_workgroup_id_z 0
		.amdhsa_system_sgpr_workgroup_info 0
		.amdhsa_system_vgpr_workitem_id 0
		.amdhsa_next_free_vgpr 1
		.amdhsa_next_free_sgpr 0
		.amdhsa_accum_offset 4
		.amdhsa_reserve_vcc 0
		.amdhsa_reserve_flat_scratch 0
		.amdhsa_float_round_mode_32 0
		.amdhsa_float_round_mode_16_64 0
		.amdhsa_float_denorm_mode_32 3
		.amdhsa_float_denorm_mode_16_64 3
		.amdhsa_dx10_clamp 1
		.amdhsa_ieee_mode 1
		.amdhsa_fp16_overflow 0
		.amdhsa_tg_split 0
		.amdhsa_exception_fp_ieee_invalid_op 0
		.amdhsa_exception_fp_denorm_src 0
		.amdhsa_exception_fp_ieee_div_zero 0
		.amdhsa_exception_fp_ieee_overflow 0
		.amdhsa_exception_fp_ieee_underflow 0
		.amdhsa_exception_fp_ieee_inexact 0
		.amdhsa_exception_int_div_zero 0
	.end_amdhsa_kernel
	.section	.text._ZN7rocprim17ROCPRIM_400000_NS6detail17trampoline_kernelINS0_14default_configENS1_25partition_config_selectorILNS1_17partition_subalgoE5EiNS0_10empty_typeEbEEZZNS1_14partition_implILS5_5ELb0ES3_mN6thrust23THRUST_200600_302600_NS17counting_iteratorIiNSA_11use_defaultESC_SC_EEPS6_NSA_18transform_iteratorINSA_8identityIiEENSA_6detail15normal_iteratorINSA_10device_ptrIiEEEESC_SC_EENS0_5tupleIJSM_S6_EEENSO_IJSE_SE_EEES6_PlJS6_EEE10hipError_tPvRmT3_T4_T5_T6_T7_T9_mT8_P12ihipStream_tbDpT10_ENKUlT_T0_E_clISt17integral_constantIbLb1EES1A_IbLb0EEEEDaS16_S17_EUlS16_E_NS1_11comp_targetILNS1_3genE0ELNS1_11target_archE4294967295ELNS1_3gpuE0ELNS1_3repE0EEENS1_30default_config_static_selectorELNS0_4arch9wavefront6targetE1EEEvT1_,"axG",@progbits,_ZN7rocprim17ROCPRIM_400000_NS6detail17trampoline_kernelINS0_14default_configENS1_25partition_config_selectorILNS1_17partition_subalgoE5EiNS0_10empty_typeEbEEZZNS1_14partition_implILS5_5ELb0ES3_mN6thrust23THRUST_200600_302600_NS17counting_iteratorIiNSA_11use_defaultESC_SC_EEPS6_NSA_18transform_iteratorINSA_8identityIiEENSA_6detail15normal_iteratorINSA_10device_ptrIiEEEESC_SC_EENS0_5tupleIJSM_S6_EEENSO_IJSE_SE_EEES6_PlJS6_EEE10hipError_tPvRmT3_T4_T5_T6_T7_T9_mT8_P12ihipStream_tbDpT10_ENKUlT_T0_E_clISt17integral_constantIbLb1EES1A_IbLb0EEEEDaS16_S17_EUlS16_E_NS1_11comp_targetILNS1_3genE0ELNS1_11target_archE4294967295ELNS1_3gpuE0ELNS1_3repE0EEENS1_30default_config_static_selectorELNS0_4arch9wavefront6targetE1EEEvT1_,comdat
.Lfunc_end28:
	.size	_ZN7rocprim17ROCPRIM_400000_NS6detail17trampoline_kernelINS0_14default_configENS1_25partition_config_selectorILNS1_17partition_subalgoE5EiNS0_10empty_typeEbEEZZNS1_14partition_implILS5_5ELb0ES3_mN6thrust23THRUST_200600_302600_NS17counting_iteratorIiNSA_11use_defaultESC_SC_EEPS6_NSA_18transform_iteratorINSA_8identityIiEENSA_6detail15normal_iteratorINSA_10device_ptrIiEEEESC_SC_EENS0_5tupleIJSM_S6_EEENSO_IJSE_SE_EEES6_PlJS6_EEE10hipError_tPvRmT3_T4_T5_T6_T7_T9_mT8_P12ihipStream_tbDpT10_ENKUlT_T0_E_clISt17integral_constantIbLb1EES1A_IbLb0EEEEDaS16_S17_EUlS16_E_NS1_11comp_targetILNS1_3genE0ELNS1_11target_archE4294967295ELNS1_3gpuE0ELNS1_3repE0EEENS1_30default_config_static_selectorELNS0_4arch9wavefront6targetE1EEEvT1_, .Lfunc_end28-_ZN7rocprim17ROCPRIM_400000_NS6detail17trampoline_kernelINS0_14default_configENS1_25partition_config_selectorILNS1_17partition_subalgoE5EiNS0_10empty_typeEbEEZZNS1_14partition_implILS5_5ELb0ES3_mN6thrust23THRUST_200600_302600_NS17counting_iteratorIiNSA_11use_defaultESC_SC_EEPS6_NSA_18transform_iteratorINSA_8identityIiEENSA_6detail15normal_iteratorINSA_10device_ptrIiEEEESC_SC_EENS0_5tupleIJSM_S6_EEENSO_IJSE_SE_EEES6_PlJS6_EEE10hipError_tPvRmT3_T4_T5_T6_T7_T9_mT8_P12ihipStream_tbDpT10_ENKUlT_T0_E_clISt17integral_constantIbLb1EES1A_IbLb0EEEEDaS16_S17_EUlS16_E_NS1_11comp_targetILNS1_3genE0ELNS1_11target_archE4294967295ELNS1_3gpuE0ELNS1_3repE0EEENS1_30default_config_static_selectorELNS0_4arch9wavefront6targetE1EEEvT1_
                                        ; -- End function
	.section	.AMDGPU.csdata,"",@progbits
; Kernel info:
; codeLenInByte = 0
; NumSgprs: 4
; NumVgprs: 0
; NumAgprs: 0
; TotalNumVgprs: 0
; ScratchSize: 0
; MemoryBound: 0
; FloatMode: 240
; IeeeMode: 1
; LDSByteSize: 0 bytes/workgroup (compile time only)
; SGPRBlocks: 0
; VGPRBlocks: 0
; NumSGPRsForWavesPerEU: 4
; NumVGPRsForWavesPerEU: 1
; AccumOffset: 4
; Occupancy: 8
; WaveLimiterHint : 0
; COMPUTE_PGM_RSRC2:SCRATCH_EN: 0
; COMPUTE_PGM_RSRC2:USER_SGPR: 6
; COMPUTE_PGM_RSRC2:TRAP_HANDLER: 0
; COMPUTE_PGM_RSRC2:TGID_X_EN: 1
; COMPUTE_PGM_RSRC2:TGID_Y_EN: 0
; COMPUTE_PGM_RSRC2:TGID_Z_EN: 0
; COMPUTE_PGM_RSRC2:TIDIG_COMP_CNT: 0
; COMPUTE_PGM_RSRC3_GFX90A:ACCUM_OFFSET: 0
; COMPUTE_PGM_RSRC3_GFX90A:TG_SPLIT: 0
	.section	.text._ZN7rocprim17ROCPRIM_400000_NS6detail17trampoline_kernelINS0_14default_configENS1_25partition_config_selectorILNS1_17partition_subalgoE5EiNS0_10empty_typeEbEEZZNS1_14partition_implILS5_5ELb0ES3_mN6thrust23THRUST_200600_302600_NS17counting_iteratorIiNSA_11use_defaultESC_SC_EEPS6_NSA_18transform_iteratorINSA_8identityIiEENSA_6detail15normal_iteratorINSA_10device_ptrIiEEEESC_SC_EENS0_5tupleIJSM_S6_EEENSO_IJSE_SE_EEES6_PlJS6_EEE10hipError_tPvRmT3_T4_T5_T6_T7_T9_mT8_P12ihipStream_tbDpT10_ENKUlT_T0_E_clISt17integral_constantIbLb1EES1A_IbLb0EEEEDaS16_S17_EUlS16_E_NS1_11comp_targetILNS1_3genE5ELNS1_11target_archE942ELNS1_3gpuE9ELNS1_3repE0EEENS1_30default_config_static_selectorELNS0_4arch9wavefront6targetE1EEEvT1_,"axG",@progbits,_ZN7rocprim17ROCPRIM_400000_NS6detail17trampoline_kernelINS0_14default_configENS1_25partition_config_selectorILNS1_17partition_subalgoE5EiNS0_10empty_typeEbEEZZNS1_14partition_implILS5_5ELb0ES3_mN6thrust23THRUST_200600_302600_NS17counting_iteratorIiNSA_11use_defaultESC_SC_EEPS6_NSA_18transform_iteratorINSA_8identityIiEENSA_6detail15normal_iteratorINSA_10device_ptrIiEEEESC_SC_EENS0_5tupleIJSM_S6_EEENSO_IJSE_SE_EEES6_PlJS6_EEE10hipError_tPvRmT3_T4_T5_T6_T7_T9_mT8_P12ihipStream_tbDpT10_ENKUlT_T0_E_clISt17integral_constantIbLb1EES1A_IbLb0EEEEDaS16_S17_EUlS16_E_NS1_11comp_targetILNS1_3genE5ELNS1_11target_archE942ELNS1_3gpuE9ELNS1_3repE0EEENS1_30default_config_static_selectorELNS0_4arch9wavefront6targetE1EEEvT1_,comdat
	.protected	_ZN7rocprim17ROCPRIM_400000_NS6detail17trampoline_kernelINS0_14default_configENS1_25partition_config_selectorILNS1_17partition_subalgoE5EiNS0_10empty_typeEbEEZZNS1_14partition_implILS5_5ELb0ES3_mN6thrust23THRUST_200600_302600_NS17counting_iteratorIiNSA_11use_defaultESC_SC_EEPS6_NSA_18transform_iteratorINSA_8identityIiEENSA_6detail15normal_iteratorINSA_10device_ptrIiEEEESC_SC_EENS0_5tupleIJSM_S6_EEENSO_IJSE_SE_EEES6_PlJS6_EEE10hipError_tPvRmT3_T4_T5_T6_T7_T9_mT8_P12ihipStream_tbDpT10_ENKUlT_T0_E_clISt17integral_constantIbLb1EES1A_IbLb0EEEEDaS16_S17_EUlS16_E_NS1_11comp_targetILNS1_3genE5ELNS1_11target_archE942ELNS1_3gpuE9ELNS1_3repE0EEENS1_30default_config_static_selectorELNS0_4arch9wavefront6targetE1EEEvT1_ ; -- Begin function _ZN7rocprim17ROCPRIM_400000_NS6detail17trampoline_kernelINS0_14default_configENS1_25partition_config_selectorILNS1_17partition_subalgoE5EiNS0_10empty_typeEbEEZZNS1_14partition_implILS5_5ELb0ES3_mN6thrust23THRUST_200600_302600_NS17counting_iteratorIiNSA_11use_defaultESC_SC_EEPS6_NSA_18transform_iteratorINSA_8identityIiEENSA_6detail15normal_iteratorINSA_10device_ptrIiEEEESC_SC_EENS0_5tupleIJSM_S6_EEENSO_IJSE_SE_EEES6_PlJS6_EEE10hipError_tPvRmT3_T4_T5_T6_T7_T9_mT8_P12ihipStream_tbDpT10_ENKUlT_T0_E_clISt17integral_constantIbLb1EES1A_IbLb0EEEEDaS16_S17_EUlS16_E_NS1_11comp_targetILNS1_3genE5ELNS1_11target_archE942ELNS1_3gpuE9ELNS1_3repE0EEENS1_30default_config_static_selectorELNS0_4arch9wavefront6targetE1EEEvT1_
	.globl	_ZN7rocprim17ROCPRIM_400000_NS6detail17trampoline_kernelINS0_14default_configENS1_25partition_config_selectorILNS1_17partition_subalgoE5EiNS0_10empty_typeEbEEZZNS1_14partition_implILS5_5ELb0ES3_mN6thrust23THRUST_200600_302600_NS17counting_iteratorIiNSA_11use_defaultESC_SC_EEPS6_NSA_18transform_iteratorINSA_8identityIiEENSA_6detail15normal_iteratorINSA_10device_ptrIiEEEESC_SC_EENS0_5tupleIJSM_S6_EEENSO_IJSE_SE_EEES6_PlJS6_EEE10hipError_tPvRmT3_T4_T5_T6_T7_T9_mT8_P12ihipStream_tbDpT10_ENKUlT_T0_E_clISt17integral_constantIbLb1EES1A_IbLb0EEEEDaS16_S17_EUlS16_E_NS1_11comp_targetILNS1_3genE5ELNS1_11target_archE942ELNS1_3gpuE9ELNS1_3repE0EEENS1_30default_config_static_selectorELNS0_4arch9wavefront6targetE1EEEvT1_
	.p2align	8
	.type	_ZN7rocprim17ROCPRIM_400000_NS6detail17trampoline_kernelINS0_14default_configENS1_25partition_config_selectorILNS1_17partition_subalgoE5EiNS0_10empty_typeEbEEZZNS1_14partition_implILS5_5ELb0ES3_mN6thrust23THRUST_200600_302600_NS17counting_iteratorIiNSA_11use_defaultESC_SC_EEPS6_NSA_18transform_iteratorINSA_8identityIiEENSA_6detail15normal_iteratorINSA_10device_ptrIiEEEESC_SC_EENS0_5tupleIJSM_S6_EEENSO_IJSE_SE_EEES6_PlJS6_EEE10hipError_tPvRmT3_T4_T5_T6_T7_T9_mT8_P12ihipStream_tbDpT10_ENKUlT_T0_E_clISt17integral_constantIbLb1EES1A_IbLb0EEEEDaS16_S17_EUlS16_E_NS1_11comp_targetILNS1_3genE5ELNS1_11target_archE942ELNS1_3gpuE9ELNS1_3repE0EEENS1_30default_config_static_selectorELNS0_4arch9wavefront6targetE1EEEvT1_,@function
_ZN7rocprim17ROCPRIM_400000_NS6detail17trampoline_kernelINS0_14default_configENS1_25partition_config_selectorILNS1_17partition_subalgoE5EiNS0_10empty_typeEbEEZZNS1_14partition_implILS5_5ELb0ES3_mN6thrust23THRUST_200600_302600_NS17counting_iteratorIiNSA_11use_defaultESC_SC_EEPS6_NSA_18transform_iteratorINSA_8identityIiEENSA_6detail15normal_iteratorINSA_10device_ptrIiEEEESC_SC_EENS0_5tupleIJSM_S6_EEENSO_IJSE_SE_EEES6_PlJS6_EEE10hipError_tPvRmT3_T4_T5_T6_T7_T9_mT8_P12ihipStream_tbDpT10_ENKUlT_T0_E_clISt17integral_constantIbLb1EES1A_IbLb0EEEEDaS16_S17_EUlS16_E_NS1_11comp_targetILNS1_3genE5ELNS1_11target_archE942ELNS1_3gpuE9ELNS1_3repE0EEENS1_30default_config_static_selectorELNS0_4arch9wavefront6targetE1EEEvT1_: ; @_ZN7rocprim17ROCPRIM_400000_NS6detail17trampoline_kernelINS0_14default_configENS1_25partition_config_selectorILNS1_17partition_subalgoE5EiNS0_10empty_typeEbEEZZNS1_14partition_implILS5_5ELb0ES3_mN6thrust23THRUST_200600_302600_NS17counting_iteratorIiNSA_11use_defaultESC_SC_EEPS6_NSA_18transform_iteratorINSA_8identityIiEENSA_6detail15normal_iteratorINSA_10device_ptrIiEEEESC_SC_EENS0_5tupleIJSM_S6_EEENSO_IJSE_SE_EEES6_PlJS6_EEE10hipError_tPvRmT3_T4_T5_T6_T7_T9_mT8_P12ihipStream_tbDpT10_ENKUlT_T0_E_clISt17integral_constantIbLb1EES1A_IbLb0EEEEDaS16_S17_EUlS16_E_NS1_11comp_targetILNS1_3genE5ELNS1_11target_archE942ELNS1_3gpuE9ELNS1_3repE0EEENS1_30default_config_static_selectorELNS0_4arch9wavefront6targetE1EEEvT1_
; %bb.0:
	.section	.rodata,"a",@progbits
	.p2align	6, 0x0
	.amdhsa_kernel _ZN7rocprim17ROCPRIM_400000_NS6detail17trampoline_kernelINS0_14default_configENS1_25partition_config_selectorILNS1_17partition_subalgoE5EiNS0_10empty_typeEbEEZZNS1_14partition_implILS5_5ELb0ES3_mN6thrust23THRUST_200600_302600_NS17counting_iteratorIiNSA_11use_defaultESC_SC_EEPS6_NSA_18transform_iteratorINSA_8identityIiEENSA_6detail15normal_iteratorINSA_10device_ptrIiEEEESC_SC_EENS0_5tupleIJSM_S6_EEENSO_IJSE_SE_EEES6_PlJS6_EEE10hipError_tPvRmT3_T4_T5_T6_T7_T9_mT8_P12ihipStream_tbDpT10_ENKUlT_T0_E_clISt17integral_constantIbLb1EES1A_IbLb0EEEEDaS16_S17_EUlS16_E_NS1_11comp_targetILNS1_3genE5ELNS1_11target_archE942ELNS1_3gpuE9ELNS1_3repE0EEENS1_30default_config_static_selectorELNS0_4arch9wavefront6targetE1EEEvT1_
		.amdhsa_group_segment_fixed_size 0
		.amdhsa_private_segment_fixed_size 0
		.amdhsa_kernarg_size 120
		.amdhsa_user_sgpr_count 6
		.amdhsa_user_sgpr_private_segment_buffer 1
		.amdhsa_user_sgpr_dispatch_ptr 0
		.amdhsa_user_sgpr_queue_ptr 0
		.amdhsa_user_sgpr_kernarg_segment_ptr 1
		.amdhsa_user_sgpr_dispatch_id 0
		.amdhsa_user_sgpr_flat_scratch_init 0
		.amdhsa_user_sgpr_kernarg_preload_length 0
		.amdhsa_user_sgpr_kernarg_preload_offset 0
		.amdhsa_user_sgpr_private_segment_size 0
		.amdhsa_uses_dynamic_stack 0
		.amdhsa_system_sgpr_private_segment_wavefront_offset 0
		.amdhsa_system_sgpr_workgroup_id_x 1
		.amdhsa_system_sgpr_workgroup_id_y 0
		.amdhsa_system_sgpr_workgroup_id_z 0
		.amdhsa_system_sgpr_workgroup_info 0
		.amdhsa_system_vgpr_workitem_id 0
		.amdhsa_next_free_vgpr 1
		.amdhsa_next_free_sgpr 0
		.amdhsa_accum_offset 4
		.amdhsa_reserve_vcc 0
		.amdhsa_reserve_flat_scratch 0
		.amdhsa_float_round_mode_32 0
		.amdhsa_float_round_mode_16_64 0
		.amdhsa_float_denorm_mode_32 3
		.amdhsa_float_denorm_mode_16_64 3
		.amdhsa_dx10_clamp 1
		.amdhsa_ieee_mode 1
		.amdhsa_fp16_overflow 0
		.amdhsa_tg_split 0
		.amdhsa_exception_fp_ieee_invalid_op 0
		.amdhsa_exception_fp_denorm_src 0
		.amdhsa_exception_fp_ieee_div_zero 0
		.amdhsa_exception_fp_ieee_overflow 0
		.amdhsa_exception_fp_ieee_underflow 0
		.amdhsa_exception_fp_ieee_inexact 0
		.amdhsa_exception_int_div_zero 0
	.end_amdhsa_kernel
	.section	.text._ZN7rocprim17ROCPRIM_400000_NS6detail17trampoline_kernelINS0_14default_configENS1_25partition_config_selectorILNS1_17partition_subalgoE5EiNS0_10empty_typeEbEEZZNS1_14partition_implILS5_5ELb0ES3_mN6thrust23THRUST_200600_302600_NS17counting_iteratorIiNSA_11use_defaultESC_SC_EEPS6_NSA_18transform_iteratorINSA_8identityIiEENSA_6detail15normal_iteratorINSA_10device_ptrIiEEEESC_SC_EENS0_5tupleIJSM_S6_EEENSO_IJSE_SE_EEES6_PlJS6_EEE10hipError_tPvRmT3_T4_T5_T6_T7_T9_mT8_P12ihipStream_tbDpT10_ENKUlT_T0_E_clISt17integral_constantIbLb1EES1A_IbLb0EEEEDaS16_S17_EUlS16_E_NS1_11comp_targetILNS1_3genE5ELNS1_11target_archE942ELNS1_3gpuE9ELNS1_3repE0EEENS1_30default_config_static_selectorELNS0_4arch9wavefront6targetE1EEEvT1_,"axG",@progbits,_ZN7rocprim17ROCPRIM_400000_NS6detail17trampoline_kernelINS0_14default_configENS1_25partition_config_selectorILNS1_17partition_subalgoE5EiNS0_10empty_typeEbEEZZNS1_14partition_implILS5_5ELb0ES3_mN6thrust23THRUST_200600_302600_NS17counting_iteratorIiNSA_11use_defaultESC_SC_EEPS6_NSA_18transform_iteratorINSA_8identityIiEENSA_6detail15normal_iteratorINSA_10device_ptrIiEEEESC_SC_EENS0_5tupleIJSM_S6_EEENSO_IJSE_SE_EEES6_PlJS6_EEE10hipError_tPvRmT3_T4_T5_T6_T7_T9_mT8_P12ihipStream_tbDpT10_ENKUlT_T0_E_clISt17integral_constantIbLb1EES1A_IbLb0EEEEDaS16_S17_EUlS16_E_NS1_11comp_targetILNS1_3genE5ELNS1_11target_archE942ELNS1_3gpuE9ELNS1_3repE0EEENS1_30default_config_static_selectorELNS0_4arch9wavefront6targetE1EEEvT1_,comdat
.Lfunc_end29:
	.size	_ZN7rocprim17ROCPRIM_400000_NS6detail17trampoline_kernelINS0_14default_configENS1_25partition_config_selectorILNS1_17partition_subalgoE5EiNS0_10empty_typeEbEEZZNS1_14partition_implILS5_5ELb0ES3_mN6thrust23THRUST_200600_302600_NS17counting_iteratorIiNSA_11use_defaultESC_SC_EEPS6_NSA_18transform_iteratorINSA_8identityIiEENSA_6detail15normal_iteratorINSA_10device_ptrIiEEEESC_SC_EENS0_5tupleIJSM_S6_EEENSO_IJSE_SE_EEES6_PlJS6_EEE10hipError_tPvRmT3_T4_T5_T6_T7_T9_mT8_P12ihipStream_tbDpT10_ENKUlT_T0_E_clISt17integral_constantIbLb1EES1A_IbLb0EEEEDaS16_S17_EUlS16_E_NS1_11comp_targetILNS1_3genE5ELNS1_11target_archE942ELNS1_3gpuE9ELNS1_3repE0EEENS1_30default_config_static_selectorELNS0_4arch9wavefront6targetE1EEEvT1_, .Lfunc_end29-_ZN7rocprim17ROCPRIM_400000_NS6detail17trampoline_kernelINS0_14default_configENS1_25partition_config_selectorILNS1_17partition_subalgoE5EiNS0_10empty_typeEbEEZZNS1_14partition_implILS5_5ELb0ES3_mN6thrust23THRUST_200600_302600_NS17counting_iteratorIiNSA_11use_defaultESC_SC_EEPS6_NSA_18transform_iteratorINSA_8identityIiEENSA_6detail15normal_iteratorINSA_10device_ptrIiEEEESC_SC_EENS0_5tupleIJSM_S6_EEENSO_IJSE_SE_EEES6_PlJS6_EEE10hipError_tPvRmT3_T4_T5_T6_T7_T9_mT8_P12ihipStream_tbDpT10_ENKUlT_T0_E_clISt17integral_constantIbLb1EES1A_IbLb0EEEEDaS16_S17_EUlS16_E_NS1_11comp_targetILNS1_3genE5ELNS1_11target_archE942ELNS1_3gpuE9ELNS1_3repE0EEENS1_30default_config_static_selectorELNS0_4arch9wavefront6targetE1EEEvT1_
                                        ; -- End function
	.section	.AMDGPU.csdata,"",@progbits
; Kernel info:
; codeLenInByte = 0
; NumSgprs: 4
; NumVgprs: 0
; NumAgprs: 0
; TotalNumVgprs: 0
; ScratchSize: 0
; MemoryBound: 0
; FloatMode: 240
; IeeeMode: 1
; LDSByteSize: 0 bytes/workgroup (compile time only)
; SGPRBlocks: 0
; VGPRBlocks: 0
; NumSGPRsForWavesPerEU: 4
; NumVGPRsForWavesPerEU: 1
; AccumOffset: 4
; Occupancy: 8
; WaveLimiterHint : 0
; COMPUTE_PGM_RSRC2:SCRATCH_EN: 0
; COMPUTE_PGM_RSRC2:USER_SGPR: 6
; COMPUTE_PGM_RSRC2:TRAP_HANDLER: 0
; COMPUTE_PGM_RSRC2:TGID_X_EN: 1
; COMPUTE_PGM_RSRC2:TGID_Y_EN: 0
; COMPUTE_PGM_RSRC2:TGID_Z_EN: 0
; COMPUTE_PGM_RSRC2:TIDIG_COMP_CNT: 0
; COMPUTE_PGM_RSRC3_GFX90A:ACCUM_OFFSET: 0
; COMPUTE_PGM_RSRC3_GFX90A:TG_SPLIT: 0
	.section	.text._ZN7rocprim17ROCPRIM_400000_NS6detail17trampoline_kernelINS0_14default_configENS1_25partition_config_selectorILNS1_17partition_subalgoE5EiNS0_10empty_typeEbEEZZNS1_14partition_implILS5_5ELb0ES3_mN6thrust23THRUST_200600_302600_NS17counting_iteratorIiNSA_11use_defaultESC_SC_EEPS6_NSA_18transform_iteratorINSA_8identityIiEENSA_6detail15normal_iteratorINSA_10device_ptrIiEEEESC_SC_EENS0_5tupleIJSM_S6_EEENSO_IJSE_SE_EEES6_PlJS6_EEE10hipError_tPvRmT3_T4_T5_T6_T7_T9_mT8_P12ihipStream_tbDpT10_ENKUlT_T0_E_clISt17integral_constantIbLb1EES1A_IbLb0EEEEDaS16_S17_EUlS16_E_NS1_11comp_targetILNS1_3genE4ELNS1_11target_archE910ELNS1_3gpuE8ELNS1_3repE0EEENS1_30default_config_static_selectorELNS0_4arch9wavefront6targetE1EEEvT1_,"axG",@progbits,_ZN7rocprim17ROCPRIM_400000_NS6detail17trampoline_kernelINS0_14default_configENS1_25partition_config_selectorILNS1_17partition_subalgoE5EiNS0_10empty_typeEbEEZZNS1_14partition_implILS5_5ELb0ES3_mN6thrust23THRUST_200600_302600_NS17counting_iteratorIiNSA_11use_defaultESC_SC_EEPS6_NSA_18transform_iteratorINSA_8identityIiEENSA_6detail15normal_iteratorINSA_10device_ptrIiEEEESC_SC_EENS0_5tupleIJSM_S6_EEENSO_IJSE_SE_EEES6_PlJS6_EEE10hipError_tPvRmT3_T4_T5_T6_T7_T9_mT8_P12ihipStream_tbDpT10_ENKUlT_T0_E_clISt17integral_constantIbLb1EES1A_IbLb0EEEEDaS16_S17_EUlS16_E_NS1_11comp_targetILNS1_3genE4ELNS1_11target_archE910ELNS1_3gpuE8ELNS1_3repE0EEENS1_30default_config_static_selectorELNS0_4arch9wavefront6targetE1EEEvT1_,comdat
	.protected	_ZN7rocprim17ROCPRIM_400000_NS6detail17trampoline_kernelINS0_14default_configENS1_25partition_config_selectorILNS1_17partition_subalgoE5EiNS0_10empty_typeEbEEZZNS1_14partition_implILS5_5ELb0ES3_mN6thrust23THRUST_200600_302600_NS17counting_iteratorIiNSA_11use_defaultESC_SC_EEPS6_NSA_18transform_iteratorINSA_8identityIiEENSA_6detail15normal_iteratorINSA_10device_ptrIiEEEESC_SC_EENS0_5tupleIJSM_S6_EEENSO_IJSE_SE_EEES6_PlJS6_EEE10hipError_tPvRmT3_T4_T5_T6_T7_T9_mT8_P12ihipStream_tbDpT10_ENKUlT_T0_E_clISt17integral_constantIbLb1EES1A_IbLb0EEEEDaS16_S17_EUlS16_E_NS1_11comp_targetILNS1_3genE4ELNS1_11target_archE910ELNS1_3gpuE8ELNS1_3repE0EEENS1_30default_config_static_selectorELNS0_4arch9wavefront6targetE1EEEvT1_ ; -- Begin function _ZN7rocprim17ROCPRIM_400000_NS6detail17trampoline_kernelINS0_14default_configENS1_25partition_config_selectorILNS1_17partition_subalgoE5EiNS0_10empty_typeEbEEZZNS1_14partition_implILS5_5ELb0ES3_mN6thrust23THRUST_200600_302600_NS17counting_iteratorIiNSA_11use_defaultESC_SC_EEPS6_NSA_18transform_iteratorINSA_8identityIiEENSA_6detail15normal_iteratorINSA_10device_ptrIiEEEESC_SC_EENS0_5tupleIJSM_S6_EEENSO_IJSE_SE_EEES6_PlJS6_EEE10hipError_tPvRmT3_T4_T5_T6_T7_T9_mT8_P12ihipStream_tbDpT10_ENKUlT_T0_E_clISt17integral_constantIbLb1EES1A_IbLb0EEEEDaS16_S17_EUlS16_E_NS1_11comp_targetILNS1_3genE4ELNS1_11target_archE910ELNS1_3gpuE8ELNS1_3repE0EEENS1_30default_config_static_selectorELNS0_4arch9wavefront6targetE1EEEvT1_
	.globl	_ZN7rocprim17ROCPRIM_400000_NS6detail17trampoline_kernelINS0_14default_configENS1_25partition_config_selectorILNS1_17partition_subalgoE5EiNS0_10empty_typeEbEEZZNS1_14partition_implILS5_5ELb0ES3_mN6thrust23THRUST_200600_302600_NS17counting_iteratorIiNSA_11use_defaultESC_SC_EEPS6_NSA_18transform_iteratorINSA_8identityIiEENSA_6detail15normal_iteratorINSA_10device_ptrIiEEEESC_SC_EENS0_5tupleIJSM_S6_EEENSO_IJSE_SE_EEES6_PlJS6_EEE10hipError_tPvRmT3_T4_T5_T6_T7_T9_mT8_P12ihipStream_tbDpT10_ENKUlT_T0_E_clISt17integral_constantIbLb1EES1A_IbLb0EEEEDaS16_S17_EUlS16_E_NS1_11comp_targetILNS1_3genE4ELNS1_11target_archE910ELNS1_3gpuE8ELNS1_3repE0EEENS1_30default_config_static_selectorELNS0_4arch9wavefront6targetE1EEEvT1_
	.p2align	8
	.type	_ZN7rocprim17ROCPRIM_400000_NS6detail17trampoline_kernelINS0_14default_configENS1_25partition_config_selectorILNS1_17partition_subalgoE5EiNS0_10empty_typeEbEEZZNS1_14partition_implILS5_5ELb0ES3_mN6thrust23THRUST_200600_302600_NS17counting_iteratorIiNSA_11use_defaultESC_SC_EEPS6_NSA_18transform_iteratorINSA_8identityIiEENSA_6detail15normal_iteratorINSA_10device_ptrIiEEEESC_SC_EENS0_5tupleIJSM_S6_EEENSO_IJSE_SE_EEES6_PlJS6_EEE10hipError_tPvRmT3_T4_T5_T6_T7_T9_mT8_P12ihipStream_tbDpT10_ENKUlT_T0_E_clISt17integral_constantIbLb1EES1A_IbLb0EEEEDaS16_S17_EUlS16_E_NS1_11comp_targetILNS1_3genE4ELNS1_11target_archE910ELNS1_3gpuE8ELNS1_3repE0EEENS1_30default_config_static_selectorELNS0_4arch9wavefront6targetE1EEEvT1_,@function
_ZN7rocprim17ROCPRIM_400000_NS6detail17trampoline_kernelINS0_14default_configENS1_25partition_config_selectorILNS1_17partition_subalgoE5EiNS0_10empty_typeEbEEZZNS1_14partition_implILS5_5ELb0ES3_mN6thrust23THRUST_200600_302600_NS17counting_iteratorIiNSA_11use_defaultESC_SC_EEPS6_NSA_18transform_iteratorINSA_8identityIiEENSA_6detail15normal_iteratorINSA_10device_ptrIiEEEESC_SC_EENS0_5tupleIJSM_S6_EEENSO_IJSE_SE_EEES6_PlJS6_EEE10hipError_tPvRmT3_T4_T5_T6_T7_T9_mT8_P12ihipStream_tbDpT10_ENKUlT_T0_E_clISt17integral_constantIbLb1EES1A_IbLb0EEEEDaS16_S17_EUlS16_E_NS1_11comp_targetILNS1_3genE4ELNS1_11target_archE910ELNS1_3gpuE8ELNS1_3repE0EEENS1_30default_config_static_selectorELNS0_4arch9wavefront6targetE1EEEvT1_: ; @_ZN7rocprim17ROCPRIM_400000_NS6detail17trampoline_kernelINS0_14default_configENS1_25partition_config_selectorILNS1_17partition_subalgoE5EiNS0_10empty_typeEbEEZZNS1_14partition_implILS5_5ELb0ES3_mN6thrust23THRUST_200600_302600_NS17counting_iteratorIiNSA_11use_defaultESC_SC_EEPS6_NSA_18transform_iteratorINSA_8identityIiEENSA_6detail15normal_iteratorINSA_10device_ptrIiEEEESC_SC_EENS0_5tupleIJSM_S6_EEENSO_IJSE_SE_EEES6_PlJS6_EEE10hipError_tPvRmT3_T4_T5_T6_T7_T9_mT8_P12ihipStream_tbDpT10_ENKUlT_T0_E_clISt17integral_constantIbLb1EES1A_IbLb0EEEEDaS16_S17_EUlS16_E_NS1_11comp_targetILNS1_3genE4ELNS1_11target_archE910ELNS1_3gpuE8ELNS1_3repE0EEENS1_30default_config_static_selectorELNS0_4arch9wavefront6targetE1EEEvT1_
; %bb.0:
	s_load_dwordx2 s[2:3], s[4:5], 0x58
	s_load_dwordx4 s[16:19], s[4:5], 0x48
	s_load_dword s1, s[4:5], 0x8
	s_load_dwordx2 s[8:9], s[4:5], 0x10
	s_load_dwordx2 s[10:11], s[4:5], 0x20
	s_load_dword s7, s[4:5], 0x70
	s_waitcnt lgkmcnt(0)
	v_mov_b32_e32 v3, s3
	v_mov_b32_e32 v2, s2
	s_load_dwordx2 s[18:19], s[18:19], 0x0
	s_mul_i32 s0, s6, 0x700
	s_add_i32 s14, s7, -1
	s_mul_i32 s3, s7, 0x700
	s_add_u32 s12, s8, s3
	s_addc_u32 s13, s9, 0
	s_cmp_eq_u32 s6, s14
	v_cmp_ge_u64_e32 vcc, s[12:13], v[2:3]
	s_cselect_b64 s[20:21], -1, 0
	s_and_b64 s[14:15], s[20:21], vcc
	s_add_i32 s1, s1, s0
	s_xor_b64 s[22:23], s[14:15], -1
	s_add_i32 s1, s1, s8
	s_mov_b64 s[12:13], -1
	v_add_u32_e32 v1, s1, v0
	s_and_b64 vcc, exec, s[22:23]
	s_cbranch_vccz .LBB30_2
; %bb.1:
	v_add_u32_e32 v2, 0x100, v1
	v_lshlrev_b32_e32 v8, 2, v0
	v_add_u32_e32 v3, 0x200, v1
	v_add_u32_e32 v4, 0x300, v1
	;; [unrolled: 1-line block ×5, first 2 shown]
	ds_write2st64_b32 v8, v1, v2 offset1:4
	ds_write2st64_b32 v8, v3, v4 offset0:8 offset1:12
	ds_write2st64_b32 v8, v5, v6 offset0:16 offset1:20
	ds_write_b32 v8, v7 offset:6144
	s_waitcnt lgkmcnt(0)
	s_barrier
	s_mov_b64 s[12:13], 0
.LBB30_2:
	s_andn2_b64 vcc, exec, s[12:13]
	s_cbranch_vccnz .LBB30_4
; %bb.3:
	v_add_u32_e32 v2, 0x100, v1
	v_lshlrev_b32_e32 v8, 2, v0
	v_add_u32_e32 v3, 0x200, v1
	v_add_u32_e32 v4, 0x300, v1
	;; [unrolled: 1-line block ×5, first 2 shown]
	ds_write2st64_b32 v8, v1, v2 offset1:4
	ds_write2st64_b32 v8, v3, v4 offset0:8 offset1:12
	ds_write2st64_b32 v8, v5, v6 offset0:16 offset1:20
	ds_write_b32 v8, v7 offset:6144
	s_waitcnt lgkmcnt(0)
	s_barrier
.LBB30_4:
	v_mul_u32_u24_e32 v1, 7, v0
	v_lshlrev_b32_e32 v1, 2, v1
	s_waitcnt lgkmcnt(0)
	ds_read2_b32 v[14:15], v1 offset1:1
	ds_read2_b32 v[12:13], v1 offset0:2 offset1:3
	ds_read2_b32 v[10:11], v1 offset0:4 offset1:5
	ds_read_b32 v17, v1 offset:24
	s_lshl_b64 s[12:13], s[8:9], 2
	s_add_u32 s7, s10, s12
	s_mov_b32 s1, 0
	s_addc_u32 s9, s11, s13
	s_lshl_b64 s[0:1], s[0:1], 2
	s_add_u32 s0, s7, s0
	s_addc_u32 s1, s9, s1
	s_mov_b64 s[10:11], -1
	s_and_b64 vcc, exec, s[22:23]
	s_waitcnt lgkmcnt(0)
	s_barrier
	s_cbranch_vccz .LBB30_6
; %bb.5:
	v_lshlrev_b32_e32 v2, 2, v0
	v_mov_b32_e32 v3, s1
	global_load_dword v4, v2, s[0:1]
	global_load_dword v5, v2, s[0:1] offset:1024
	global_load_dword v6, v2, s[0:1] offset:2048
	v_add_co_u32_e32 v7, vcc, s0, v2
	v_addc_co_u32_e32 v3, vcc, 0, v3, vcc
	global_load_dword v8, v2, s[0:1] offset:3072
	s_movk_i32 s7, 0x1000
	v_add_co_u32_e32 v2, vcc, s7, v7
	v_addc_co_u32_e32 v3, vcc, 0, v3, vcc
	global_load_dword v7, v[2:3], off
	global_load_dword v9, v[2:3], off offset:1024
	global_load_dword v16, v[2:3], off offset:2048
	s_mov_b64 s[10:11], 0
	s_waitcnt vmcnt(6)
	v_cmp_ne_u32_e32 vcc, 0, v4
	v_cndmask_b32_e64 v2, 0, 1, vcc
	s_waitcnt vmcnt(5)
	v_cmp_ne_u32_e32 vcc, 0, v5
	v_cndmask_b32_e64 v3, 0, 1, vcc
	;; [unrolled: 3-line block ×4, first 2 shown]
	ds_write_b8 v0, v2
	ds_write_b8 v0, v3 offset:256
	ds_write_b8 v0, v4 offset:512
	;; [unrolled: 1-line block ×3, first 2 shown]
	s_waitcnt vmcnt(2)
	v_cmp_ne_u32_e32 vcc, 0, v7
	v_cndmask_b32_e64 v2, 0, 1, vcc
	s_waitcnt vmcnt(1)
	v_cmp_ne_u32_e32 vcc, 0, v9
	v_cndmask_b32_e64 v3, 0, 1, vcc
	;; [unrolled: 3-line block ×3, first 2 shown]
	ds_write_b8 v0, v2 offset:1024
	ds_write_b8 v0, v3 offset:1280
	ds_write_b8 v0, v4 offset:1536
	s_waitcnt lgkmcnt(0)
	s_barrier
.LBB30_6:
	s_load_dwordx2 s[24:25], s[4:5], 0x68
	s_andn2_b64 vcc, exec, s[10:11]
	s_cbranch_vccnz .LBB30_22
; %bb.7:
	s_add_i32 s3, s3, s8
	s_sub_i32 s7, s2, s3
	s_addk_i32 s7, 0x700
	v_cmp_gt_u32_e32 vcc, s7, v0
	v_mov_b32_e32 v2, 0
	v_mov_b32_e32 v3, 0
	s_and_saveexec_b64 s[2:3], vcc
	s_cbranch_execz .LBB30_9
; %bb.8:
	v_lshlrev_b32_e32 v3, 2, v0
	global_load_dword v3, v3, s[0:1]
	s_waitcnt vmcnt(0)
	v_cmp_ne_u32_e32 vcc, 0, v3
	v_cndmask_b32_e64 v3, 0, 1, vcc
.LBB30_9:
	s_or_b64 exec, exec, s[2:3]
	v_or_b32_e32 v4, 0x100, v0
	v_cmp_gt_u32_e32 vcc, s7, v4
	s_and_saveexec_b64 s[2:3], vcc
	s_cbranch_execz .LBB30_11
; %bb.10:
	v_lshlrev_b32_e32 v2, 2, v0
	global_load_dword v2, v2, s[0:1] offset:1024
	s_waitcnt vmcnt(0)
	v_cmp_ne_u32_e32 vcc, 0, v2
	v_cndmask_b32_e64 v2, 0, 1, vcc
.LBB30_11:
	s_or_b64 exec, exec, s[2:3]
	v_or_b32_e32 v4, 0x200, v0
	v_cmp_gt_u32_e32 vcc, s7, v4
	v_mov_b32_e32 v4, 0
	v_mov_b32_e32 v5, 0
	s_and_saveexec_b64 s[2:3], vcc
	s_cbranch_execz .LBB30_13
; %bb.12:
	v_lshlrev_b32_e32 v5, 2, v0
	global_load_dword v5, v5, s[0:1] offset:2048
	s_waitcnt vmcnt(0)
	v_cmp_ne_u32_e32 vcc, 0, v5
	v_cndmask_b32_e64 v5, 0, 1, vcc
.LBB30_13:
	s_or_b64 exec, exec, s[2:3]
	v_or_b32_e32 v6, 0x300, v0
	v_cmp_gt_u32_e32 vcc, s7, v6
	s_and_saveexec_b64 s[2:3], vcc
	s_cbranch_execz .LBB30_15
; %bb.14:
	v_lshlrev_b32_e32 v4, 2, v0
	global_load_dword v4, v4, s[0:1] offset:3072
	s_waitcnt vmcnt(0)
	v_cmp_ne_u32_e32 vcc, 0, v4
	v_cndmask_b32_e64 v4, 0, 1, vcc
.LBB30_15:
	s_or_b64 exec, exec, s[2:3]
	v_or_b32_e32 v8, 0x400, v0
	v_cmp_gt_u32_e32 vcc, s7, v8
	v_mov_b32_e32 v6, 0
	v_mov_b32_e32 v7, 0
	s_and_saveexec_b64 s[2:3], vcc
	s_cbranch_execz .LBB30_17
; %bb.16:
	v_lshlrev_b32_e32 v7, 2, v8
	global_load_dword v7, v7, s[0:1]
	s_waitcnt vmcnt(0)
	v_cmp_ne_u32_e32 vcc, 0, v7
	v_cndmask_b32_e64 v7, 0, 1, vcc
.LBB30_17:
	s_or_b64 exec, exec, s[2:3]
	v_or_b32_e32 v8, 0x500, v0
	v_cmp_gt_u32_e32 vcc, s7, v8
	s_and_saveexec_b64 s[2:3], vcc
	s_cbranch_execz .LBB30_19
; %bb.18:
	v_lshlrev_b32_e32 v6, 2, v8
	global_load_dword v6, v6, s[0:1]
	s_waitcnt vmcnt(0)
	v_cmp_ne_u32_e32 vcc, 0, v6
	v_cndmask_b32_e64 v6, 0, 1, vcc
.LBB30_19:
	s_or_b64 exec, exec, s[2:3]
	v_or_b32_e32 v9, 0x600, v0
	v_cmp_gt_u32_e32 vcc, s7, v9
	v_mov_b32_e32 v8, 0
	s_and_saveexec_b64 s[2:3], vcc
	s_cbranch_execz .LBB30_21
; %bb.20:
	v_lshlrev_b32_e32 v8, 2, v9
	global_load_dword v8, v8, s[0:1]
	s_waitcnt vmcnt(0)
	v_cmp_ne_u32_e32 vcc, 0, v8
	v_cndmask_b32_e64 v8, 0, 1, vcc
.LBB30_21:
	s_or_b64 exec, exec, s[2:3]
	ds_write_b8 v0, v3
	ds_write_b8 v0, v2 offset:256
	ds_write_b8 v0, v5 offset:512
	;; [unrolled: 1-line block ×6, first 2 shown]
	s_waitcnt lgkmcnt(0)
	s_barrier
.LBB30_22:
	s_movk_i32 s0, 0xffeb
	v_mad_i32_i24 v23, v0, s0, v1
	s_waitcnt lgkmcnt(0)
	ds_read_u8 v1, v23
	ds_read_u8 v2, v23 offset:1
	ds_read_u8 v3, v23 offset:2
	;; [unrolled: 1-line block ×6, first 2 shown]
	s_waitcnt lgkmcnt(6)
	v_and_b32_e32 v26, 1, v1
	s_waitcnt lgkmcnt(5)
	v_and_b32_e32 v24, 1, v2
	;; [unrolled: 2-line block ×3, first 2 shown]
	v_add_co_u32_e32 v2, vcc, v24, v26
	v_addc_co_u32_e64 v3, s[0:1], 0, 0, vcc
	v_add_co_u32_e32 v2, vcc, v2, v22
	s_waitcnt lgkmcnt(3)
	v_and_b32_e32 v20, 1, v4
	v_addc_co_u32_e32 v3, vcc, 0, v3, vcc
	v_add_co_u32_e32 v2, vcc, v2, v20
	s_waitcnt lgkmcnt(2)
	v_and_b32_e32 v18, 1, v5
	v_addc_co_u32_e32 v3, vcc, 0, v3, vcc
	;; [unrolled: 4-line block ×4, first 2 shown]
	v_add_co_u32_e32 v28, vcc, v2, v19
	v_mbcnt_lo_u32_b32 v2, -1, 0
	v_mbcnt_hi_u32_b32 v21, -1, v2
	v_addc_co_u32_e32 v29, vcc, 0, v3, vcc
	v_and_b32_e32 v27, 15, v21
	s_cmp_lg_u32 s6, 0
	v_mov_b32_e32 v1, 0
	v_cmp_eq_u32_e64 s[2:3], 0, v27
	v_cmp_lt_u32_e64 s[0:1], 1, v27
	v_cmp_lt_u32_e64 s[10:11], 3, v27
	;; [unrolled: 1-line block ×3, first 2 shown]
	v_and_b32_e32 v25, 16, v21
	v_cmp_eq_u32_e64 s[12:13], 0, v21
	v_cmp_ne_u32_e32 vcc, 0, v21
	s_barrier
	s_cbranch_scc0 .LBB30_55
; %bb.23:
	v_mov_b32_dpp v2, v28 row_shr:1 row_mask:0xf bank_mask:0xf
	v_add_co_u32_e64 v2, s[14:15], v28, v2
	v_addc_co_u32_e64 v3, s[14:15], 0, v29, s[14:15]
	v_mov_b32_dpp v1, v1 row_shr:1 row_mask:0xf bank_mask:0xf
	v_add_co_u32_e64 v4, s[14:15], 0, v2
	v_addc_co_u32_e64 v1, s[14:15], v1, v3, s[14:15]
	v_cndmask_b32_e64 v2, v2, v28, s[2:3]
	v_cndmask_b32_e64 v3, v1, 0, s[2:3]
	v_cndmask_b32_e64 v4, v4, v28, s[2:3]
	v_mov_b32_dpp v5, v2 row_shr:2 row_mask:0xf bank_mask:0xf
	v_cndmask_b32_e64 v1, v1, v29, s[2:3]
	v_mov_b32_dpp v6, v3 row_shr:2 row_mask:0xf bank_mask:0xf
	v_add_co_u32_e64 v5, s[14:15], v5, v4
	v_addc_co_u32_e64 v6, s[14:15], v6, v1, s[14:15]
	v_cndmask_b32_e64 v2, v2, v5, s[0:1]
	v_cndmask_b32_e64 v3, v3, v6, s[0:1]
	v_cndmask_b32_e64 v4, v4, v5, s[0:1]
	v_mov_b32_dpp v5, v2 row_shr:4 row_mask:0xf bank_mask:0xf
	v_cndmask_b32_e64 v1, v1, v6, s[0:1]
	;; [unrolled: 8-line block ×3, first 2 shown]
	v_mov_b32_dpp v6, v3 row_shr:8 row_mask:0xf bank_mask:0xf
	v_add_co_u32_e64 v5, s[10:11], v5, v4
	v_addc_co_u32_e64 v6, s[10:11], v6, v1, s[10:11]
	v_cndmask_b32_e64 v2, v2, v5, s[8:9]
	v_cndmask_b32_e64 v3, v3, v6, s[8:9]
	;; [unrolled: 1-line block ×3, first 2 shown]
	v_mov_b32_dpp v5, v2 row_bcast:15 row_mask:0xf bank_mask:0xf
	v_cndmask_b32_e64 v1, v1, v6, s[8:9]
	v_mov_b32_dpp v6, v3 row_bcast:15 row_mask:0xf bank_mask:0xf
	v_add_co_u32_e64 v5, s[8:9], v5, v4
	v_addc_co_u32_e64 v7, s[8:9], v6, v1, s[8:9]
	v_cmp_eq_u32_e64 s[8:9], 0, v25
	v_cndmask_b32_e64 v3, v7, v3, s[8:9]
	v_cndmask_b32_e64 v2, v5, v2, s[8:9]
	s_nop 0
	v_mov_b32_dpp v8, v3 row_bcast:31 row_mask:0xf bank_mask:0xf
	v_mov_b32_dpp v6, v2 row_bcast:31 row_mask:0xf bank_mask:0xf
	v_pk_mov_b32 v[2:3], v[28:29], v[28:29] op_sel:[0,1]
	s_and_saveexec_b64 s[10:11], vcc
; %bb.24:
	v_cmp_lt_u32_e32 vcc, 31, v21
	v_cndmask_b32_e64 v2, v5, v4, s[8:9]
	v_cndmask_b32_e32 v4, 0, v6, vcc
	v_cndmask_b32_e64 v1, v7, v1, s[8:9]
	v_cndmask_b32_e32 v3, 0, v8, vcc
	v_add_co_u32_e32 v2, vcc, v4, v2
	v_addc_co_u32_e32 v3, vcc, v3, v1, vcc
; %bb.25:
	s_or_b64 exec, exec, s[10:11]
	v_or_b32_e32 v4, 63, v0
	v_lshrrev_b32_e32 v1, 6, v0
	v_cmp_eq_u32_e32 vcc, v4, v0
	s_and_saveexec_b64 s[8:9], vcc
	s_cbranch_execz .LBB30_27
; %bb.26:
	v_lshlrev_b32_e32 v4, 3, v1
	ds_write_b64 v4, v[2:3]
.LBB30_27:
	s_or_b64 exec, exec, s[8:9]
	v_cmp_gt_u32_e32 vcc, 4, v0
	s_waitcnt lgkmcnt(0)
	s_barrier
	s_and_saveexec_b64 s[10:11], vcc
	s_cbranch_execz .LBB30_29
; %bb.28:
	v_lshlrev_b32_e32 v6, 3, v0
	ds_read_b64 v[4:5], v6
	v_and_b32_e32 v7, 3, v21
	v_cmp_ne_u32_e64 s[8:9], 1, v7
	s_waitcnt lgkmcnt(0)
	v_mov_b32_dpp v8, v4 row_shr:1 row_mask:0xf bank_mask:0xf
	v_add_co_u32_e32 v8, vcc, v4, v8
	v_addc_co_u32_e32 v30, vcc, 0, v5, vcc
	v_mov_b32_dpp v9, v5 row_shr:1 row_mask:0xf bank_mask:0xf
	v_add_co_u32_e32 v31, vcc, 0, v8
	v_addc_co_u32_e32 v9, vcc, v9, v30, vcc
	v_cmp_eq_u32_e32 vcc, 0, v7
	v_cndmask_b32_e32 v8, v8, v4, vcc
	v_cndmask_b32_e32 v30, v9, v5, vcc
	s_nop 0
	v_mov_b32_dpp v8, v8 row_shr:2 row_mask:0xf bank_mask:0xf
	v_mov_b32_dpp v30, v30 row_shr:2 row_mask:0xf bank_mask:0xf
	v_cndmask_b32_e64 v7, 0, v8, s[8:9]
	v_cndmask_b32_e64 v8, 0, v30, s[8:9]
	v_add_co_u32_e64 v7, s[8:9], v7, v31
	v_addc_co_u32_e64 v8, s[8:9], v8, v9, s[8:9]
	v_cndmask_b32_e32 v5, v8, v5, vcc
	v_cndmask_b32_e32 v4, v7, v4, vcc
	ds_write_b64 v6, v[4:5]
.LBB30_29:
	s_or_b64 exec, exec, s[10:11]
	v_cmp_gt_u32_e32 vcc, 64, v0
	v_cmp_lt_u32_e64 s[8:9], 63, v0
	s_waitcnt lgkmcnt(0)
	s_barrier
	s_waitcnt lgkmcnt(0)
                                        ; implicit-def: $vgpr30_vgpr31
	s_and_saveexec_b64 s[10:11], s[8:9]
	s_cbranch_execz .LBB30_31
; %bb.30:
	v_lshl_add_u32 v1, v1, 3, -8
	ds_read_b64 v[30:31], v1
	s_waitcnt lgkmcnt(0)
	v_add_co_u32_e64 v2, s[8:9], v30, v2
	v_addc_co_u32_e64 v3, s[8:9], v31, v3, s[8:9]
.LBB30_31:
	s_or_b64 exec, exec, s[10:11]
	v_add_u32_e32 v1, -1, v21
	v_and_b32_e32 v4, 64, v21
	v_cmp_lt_i32_e64 s[8:9], v1, v4
	v_cndmask_b32_e64 v1, v1, v21, s[8:9]
	v_lshlrev_b32_e32 v4, 2, v1
	ds_bpermute_b32 v1, v4, v2
	ds_bpermute_b32 v38, v4, v3
	s_and_saveexec_b64 s[14:15], vcc
	s_cbranch_execz .LBB30_54
; %bb.32:
	v_mov_b32_e32 v5, 0
	ds_read_b64 v[2:3], v5 offset:24
	s_and_saveexec_b64 s[8:9], s[12:13]
	s_cbranch_execz .LBB30_34
; %bb.33:
	s_add_i32 s10, s6, 64
	s_mov_b32 s11, 0
	s_lshl_b64 s[10:11], s[10:11], 4
	s_add_u32 s10, s24, s10
	s_addc_u32 s11, s25, s11
	v_mov_b32_e32 v4, 1
	v_pk_mov_b32 v[6:7], s[10:11], s[10:11] op_sel:[0,1]
	s_waitcnt lgkmcnt(0)
	;;#ASMSTART
	global_store_dwordx4 v[6:7], v[2:5] off	
s_waitcnt vmcnt(0)
	;;#ASMEND
.LBB30_34:
	s_or_b64 exec, exec, s[8:9]
	v_xad_u32 v32, v21, -1, s6
	v_add_u32_e32 v4, 64, v32
	v_lshlrev_b64 v[6:7], 4, v[4:5]
	v_mov_b32_e32 v4, s25
	v_add_co_u32_e32 v34, vcc, s24, v6
	v_addc_co_u32_e32 v35, vcc, v4, v7, vcc
	;;#ASMSTART
	global_load_dwordx4 v[6:9], v[34:35] off glc	
s_waitcnt vmcnt(0)
	;;#ASMEND
	v_and_b32_e32 v4, 0xff, v7
	v_and_b32_e32 v9, 0xff00, v7
	;; [unrolled: 1-line block ×3, first 2 shown]
	v_or3_b32 v4, 0, v4, v9
	v_or3_b32 v6, v6, 0, 0
	v_and_b32_e32 v7, 0xff000000, v7
	v_or3_b32 v7, v4, v33, v7
	v_or3_b32 v6, v6, 0, 0
	v_cmp_eq_u16_sdwa s[10:11], v8, v5 src0_sel:BYTE_0 src1_sel:DWORD
	s_and_saveexec_b64 s[8:9], s[10:11]
	s_cbranch_execz .LBB30_40
; %bb.35:
	s_mov_b32 s7, 1
	s_mov_b64 s[10:11], 0
	v_mov_b32_e32 v4, 0
.LBB30_36:                              ; =>This Loop Header: Depth=1
                                        ;     Child Loop BB30_37 Depth 2
	s_max_u32 s26, s7, 1
.LBB30_37:                              ;   Parent Loop BB30_36 Depth=1
                                        ; =>  This Inner Loop Header: Depth=2
	s_add_i32 s26, s26, -1
	s_cmp_eq_u32 s26, 0
	s_sleep 1
	s_cbranch_scc0 .LBB30_37
; %bb.38:                               ;   in Loop: Header=BB30_36 Depth=1
	s_cmp_lt_u32 s7, 32
	s_cselect_b64 s[26:27], -1, 0
	s_cmp_lg_u64 s[26:27], 0
	s_addc_u32 s7, s7, 0
	;;#ASMSTART
	global_load_dwordx4 v[6:9], v[34:35] off glc	
s_waitcnt vmcnt(0)
	;;#ASMEND
	v_cmp_ne_u16_sdwa s[26:27], v8, v4 src0_sel:BYTE_0 src1_sel:DWORD
	s_or_b64 s[10:11], s[26:27], s[10:11]
	s_andn2_b64 exec, exec, s[10:11]
	s_cbranch_execnz .LBB30_36
; %bb.39:
	s_or_b64 exec, exec, s[10:11]
.LBB30_40:
	s_or_b64 exec, exec, s[8:9]
	v_and_b32_e32 v40, 63, v21
	v_mov_b32_e32 v39, 2
	v_cmp_ne_u32_e32 vcc, 63, v40
	v_cmp_eq_u16_sdwa s[8:9], v8, v39 src0_sel:BYTE_0 src1_sel:DWORD
	v_lshlrev_b64 v[34:35], v21, -1
	v_addc_co_u32_e32 v9, vcc, 0, v21, vcc
	v_and_b32_e32 v4, s9, v35
	v_lshlrev_b32_e32 v41, 2, v9
	v_or_b32_e32 v4, 0x80000000, v4
	ds_bpermute_b32 v9, v41, v6
	v_and_b32_e32 v5, s8, v34
	v_ffbl_b32_e32 v4, v4
	v_add_u32_e32 v4, 32, v4
	v_ffbl_b32_e32 v5, v5
	v_min_u32_e32 v4, v5, v4
	ds_bpermute_b32 v5, v41, v7
	s_waitcnt lgkmcnt(1)
	v_add_co_u32_e32 v9, vcc, v6, v9
	v_addc_co_u32_e32 v36, vcc, 0, v7, vcc
	v_add_co_u32_e32 v37, vcc, 0, v9
	v_cmp_gt_u32_e64 s[8:9], 62, v40
	s_waitcnt lgkmcnt(0)
	v_addc_co_u32_e32 v5, vcc, v5, v36, vcc
	v_cndmask_b32_e64 v36, 0, 1, s[8:9]
	v_cmp_lt_u32_e32 vcc, v40, v4
	v_lshlrev_b32_e32 v36, 1, v36
	v_cndmask_b32_e32 v9, v6, v9, vcc
	v_add_lshl_u32 v42, v36, v21, 2
	v_cndmask_b32_e32 v5, v7, v5, vcc
	ds_bpermute_b32 v36, v42, v9
	ds_bpermute_b32 v44, v42, v5
	v_cndmask_b32_e32 v37, v6, v37, vcc
	v_add_u32_e32 v43, 2, v40
	v_cmp_gt_u32_e64 s[10:11], 60, v40
	s_waitcnt lgkmcnt(1)
	v_add_co_u32_e64 v36, s[8:9], v36, v37
	s_waitcnt lgkmcnt(0)
	v_addc_co_u32_e64 v44, s[8:9], v44, v5, s[8:9]
	v_cmp_gt_u32_e64 s[8:9], v43, v4
	v_cndmask_b32_e64 v5, v44, v5, s[8:9]
	v_cndmask_b32_e64 v44, 0, 1, s[10:11]
	v_lshlrev_b32_e32 v44, 2, v44
	v_cndmask_b32_e64 v9, v36, v9, s[8:9]
	v_add_lshl_u32 v44, v44, v21, 2
	ds_bpermute_b32 v46, v44, v9
	v_cndmask_b32_e64 v36, v36, v37, s[8:9]
	ds_bpermute_b32 v37, v44, v5
	v_add_u32_e32 v45, 4, v40
	v_cmp_gt_u32_e64 s[10:11], 56, v40
	s_waitcnt lgkmcnt(1)
	v_add_co_u32_e64 v47, s[8:9], v46, v36
	s_waitcnt lgkmcnt(0)
	v_addc_co_u32_e64 v37, s[8:9], v37, v5, s[8:9]
	v_cmp_gt_u32_e64 s[8:9], v45, v4
	v_cndmask_b32_e64 v5, v37, v5, s[8:9]
	v_cndmask_b32_e64 v37, 0, 1, s[10:11]
	v_lshlrev_b32_e32 v37, 3, v37
	v_cndmask_b32_e64 v9, v47, v9, s[8:9]
	v_add_lshl_u32 v46, v37, v21, 2
	ds_bpermute_b32 v37, v46, v9
	ds_bpermute_b32 v48, v46, v5
	v_cndmask_b32_e64 v36, v47, v36, s[8:9]
	v_add_u32_e32 v47, 8, v40
	v_cmp_gt_u32_e64 s[10:11], 48, v40
	s_waitcnt lgkmcnt(1)
	v_add_co_u32_e64 v37, s[8:9], v37, v36
	s_waitcnt lgkmcnt(0)
	v_addc_co_u32_e64 v48, s[8:9], v48, v5, s[8:9]
	v_cmp_gt_u32_e64 s[8:9], v47, v4
	v_cndmask_b32_e64 v5, v48, v5, s[8:9]
	v_cndmask_b32_e64 v48, 0, 1, s[10:11]
	v_lshlrev_b32_e32 v48, 4, v48
	v_cndmask_b32_e64 v9, v37, v9, s[8:9]
	v_add_lshl_u32 v48, v48, v21, 2
	ds_bpermute_b32 v50, v48, v9
	v_cndmask_b32_e64 v36, v37, v36, s[8:9]
	ds_bpermute_b32 v37, v48, v5
	v_cmp_gt_u32_e64 s[10:11], 32, v40
	v_add_u32_e32 v49, 16, v40
	s_waitcnt lgkmcnt(1)
	v_add_co_u32_e64 v52, s[8:9], v50, v36
	s_waitcnt lgkmcnt(0)
	v_addc_co_u32_e64 v37, s[8:9], v37, v5, s[8:9]
	v_cndmask_b32_e64 v50, 0, 1, s[10:11]
	v_cmp_gt_u32_e64 s[8:9], v49, v4
	v_lshlrev_b32_e32 v50, 5, v50
	v_cndmask_b32_e64 v9, v52, v9, s[8:9]
	v_add_lshl_u32 v50, v50, v21, 2
	v_cndmask_b32_e64 v5, v37, v5, s[8:9]
	ds_bpermute_b32 v9, v50, v9
	ds_bpermute_b32 v37, v50, v5
	v_add_u32_e32 v51, 32, v40
	v_cndmask_b32_e64 v36, v52, v36, s[8:9]
	v_cmp_le_u32_e64 s[8:9], v51, v4
	s_waitcnt lgkmcnt(1)
	v_cndmask_b32_e64 v9, 0, v9, s[8:9]
	s_waitcnt lgkmcnt(0)
	v_cndmask_b32_e64 v4, 0, v37, s[8:9]
	v_add_co_u32_e64 v9, s[8:9], v9, v36
	v_addc_co_u32_e64 v4, s[8:9], v4, v5, s[8:9]
	v_mov_b32_e32 v33, 0
	v_cndmask_b32_e32 v7, v7, v4, vcc
	v_cndmask_b32_e32 v6, v6, v9, vcc
	s_branch .LBB30_42
.LBB30_41:                              ;   in Loop: Header=BB30_42 Depth=1
	s_or_b64 exec, exec, s[8:9]
	v_cmp_eq_u16_sdwa s[8:9], v8, v39 src0_sel:BYTE_0 src1_sel:DWORD
	v_and_b32_e32 v9, s9, v35
	v_or_b32_e32 v9, 0x80000000, v9
	ds_bpermute_b32 v37, v41, v6
	v_and_b32_e32 v36, s8, v34
	v_ffbl_b32_e32 v9, v9
	v_add_u32_e32 v9, 32, v9
	v_ffbl_b32_e32 v36, v36
	v_min_u32_e32 v9, v36, v9
	ds_bpermute_b32 v36, v41, v7
	s_waitcnt lgkmcnt(1)
	v_add_co_u32_e32 v37, vcc, v6, v37
	v_addc_co_u32_e32 v52, vcc, 0, v7, vcc
	v_add_co_u32_e32 v53, vcc, 0, v37
	s_waitcnt lgkmcnt(0)
	v_addc_co_u32_e32 v36, vcc, v36, v52, vcc
	v_cmp_lt_u32_e32 vcc, v40, v9
	v_cndmask_b32_e32 v37, v6, v37, vcc
	ds_bpermute_b32 v52, v42, v37
	v_cndmask_b32_e32 v36, v7, v36, vcc
	ds_bpermute_b32 v54, v42, v36
	v_cndmask_b32_e32 v53, v6, v53, vcc
	v_subrev_u32_e32 v32, 64, v32
	s_waitcnt lgkmcnt(1)
	v_add_co_u32_e64 v52, s[8:9], v52, v53
	s_waitcnt lgkmcnt(0)
	v_addc_co_u32_e64 v54, s[8:9], v54, v36, s[8:9]
	v_cmp_gt_u32_e64 s[8:9], v43, v9
	v_cndmask_b32_e64 v37, v52, v37, s[8:9]
	ds_bpermute_b32 v55, v44, v37
	v_cndmask_b32_e64 v36, v54, v36, s[8:9]
	ds_bpermute_b32 v54, v44, v36
	v_cndmask_b32_e64 v52, v52, v53, s[8:9]
	s_waitcnt lgkmcnt(1)
	v_add_co_u32_e64 v53, s[8:9], v55, v52
	s_waitcnt lgkmcnt(0)
	v_addc_co_u32_e64 v54, s[8:9], v54, v36, s[8:9]
	v_cmp_gt_u32_e64 s[8:9], v45, v9
	v_cndmask_b32_e64 v37, v53, v37, s[8:9]
	ds_bpermute_b32 v55, v46, v37
	v_cndmask_b32_e64 v36, v54, v36, s[8:9]
	ds_bpermute_b32 v54, v46, v36
	v_cndmask_b32_e64 v52, v53, v52, s[8:9]
	;; [unrolled: 10-line block ×3, first 2 shown]
	s_waitcnt lgkmcnt(1)
	v_add_co_u32_e64 v53, s[8:9], v55, v52
	s_waitcnt lgkmcnt(0)
	v_addc_co_u32_e64 v54, s[8:9], v54, v36, s[8:9]
	v_cmp_gt_u32_e64 s[8:9], v49, v9
	v_cndmask_b32_e64 v37, v53, v37, s[8:9]
	v_cndmask_b32_e64 v36, v54, v36, s[8:9]
	ds_bpermute_b32 v37, v50, v37
	ds_bpermute_b32 v54, v50, v36
	v_cndmask_b32_e64 v52, v53, v52, s[8:9]
	v_cmp_le_u32_e64 s[8:9], v51, v9
	s_waitcnt lgkmcnt(1)
	v_cndmask_b32_e64 v37, 0, v37, s[8:9]
	s_waitcnt lgkmcnt(0)
	v_cndmask_b32_e64 v9, 0, v54, s[8:9]
	v_add_co_u32_e64 v37, s[8:9], v37, v52
	v_addc_co_u32_e64 v9, s[8:9], v9, v36, s[8:9]
	v_cndmask_b32_e32 v6, v6, v37, vcc
	v_cndmask_b32_e32 v7, v7, v9, vcc
	v_add_co_u32_e32 v6, vcc, v6, v4
	v_addc_co_u32_e32 v7, vcc, v7, v5, vcc
.LBB30_42:                              ; =>This Loop Header: Depth=1
                                        ;     Child Loop BB30_45 Depth 2
                                        ;       Child Loop BB30_46 Depth 3
	v_cmp_ne_u16_sdwa s[8:9], v8, v39 src0_sel:BYTE_0 src1_sel:DWORD
	v_cndmask_b32_e64 v4, 0, 1, s[8:9]
	;;#ASMSTART
	;;#ASMEND
	v_cmp_ne_u32_e32 vcc, 0, v4
	s_cmp_lg_u64 vcc, exec
	v_pk_mov_b32 v[4:5], v[6:7], v[6:7] op_sel:[0,1]
	s_cbranch_scc1 .LBB30_49
; %bb.43:                               ;   in Loop: Header=BB30_42 Depth=1
	v_lshlrev_b64 v[6:7], 4, v[32:33]
	v_mov_b32_e32 v8, s25
	v_add_co_u32_e32 v36, vcc, s24, v6
	v_addc_co_u32_e32 v37, vcc, v8, v7, vcc
	;;#ASMSTART
	global_load_dwordx4 v[6:9], v[36:37] off glc	
s_waitcnt vmcnt(0)
	;;#ASMEND
	v_and_b32_e32 v9, 0xff, v7
	v_and_b32_e32 v52, 0xff00, v7
	v_and_b32_e32 v53, 0xff0000, v7
	v_or3_b32 v9, 0, v9, v52
	v_or3_b32 v6, v6, 0, 0
	v_and_b32_e32 v7, 0xff000000, v7
	v_or3_b32 v7, v9, v53, v7
	v_or3_b32 v6, v6, 0, 0
	v_cmp_eq_u16_sdwa s[10:11], v8, v33 src0_sel:BYTE_0 src1_sel:DWORD
	s_and_saveexec_b64 s[8:9], s[10:11]
	s_cbranch_execz .LBB30_41
; %bb.44:                               ;   in Loop: Header=BB30_42 Depth=1
	s_mov_b32 s7, 1
	s_mov_b64 s[10:11], 0
.LBB30_45:                              ;   Parent Loop BB30_42 Depth=1
                                        ; =>  This Loop Header: Depth=2
                                        ;       Child Loop BB30_46 Depth 3
	s_max_u32 s26, s7, 1
.LBB30_46:                              ;   Parent Loop BB30_42 Depth=1
                                        ;     Parent Loop BB30_45 Depth=2
                                        ; =>    This Inner Loop Header: Depth=3
	s_add_i32 s26, s26, -1
	s_cmp_eq_u32 s26, 0
	s_sleep 1
	s_cbranch_scc0 .LBB30_46
; %bb.47:                               ;   in Loop: Header=BB30_45 Depth=2
	s_cmp_lt_u32 s7, 32
	s_cselect_b64 s[26:27], -1, 0
	s_cmp_lg_u64 s[26:27], 0
	s_addc_u32 s7, s7, 0
	;;#ASMSTART
	global_load_dwordx4 v[6:9], v[36:37] off glc	
s_waitcnt vmcnt(0)
	;;#ASMEND
	v_cmp_ne_u16_sdwa s[26:27], v8, v33 src0_sel:BYTE_0 src1_sel:DWORD
	s_or_b64 s[10:11], s[26:27], s[10:11]
	s_andn2_b64 exec, exec, s[10:11]
	s_cbranch_execnz .LBB30_45
; %bb.48:                               ;   in Loop: Header=BB30_42 Depth=1
	s_or_b64 exec, exec, s[10:11]
	s_branch .LBB30_41
.LBB30_49:                              ;   in Loop: Header=BB30_42 Depth=1
                                        ; implicit-def: $vgpr6_vgpr7
                                        ; implicit-def: $vgpr8
	s_cbranch_execz .LBB30_42
; %bb.50:
	s_and_saveexec_b64 s[8:9], s[12:13]
	s_cbranch_execz .LBB30_52
; %bb.51:
	s_add_i32 s6, s6, 64
	s_mov_b32 s7, 0
	s_lshl_b64 s[6:7], s[6:7], 4
	s_add_u32 s6, s24, s6
	v_add_co_u32_e32 v6, vcc, v4, v2
	s_addc_u32 s7, s25, s7
	v_addc_co_u32_e32 v7, vcc, v5, v3, vcc
	v_mov_b32_e32 v8, 2
	v_mov_b32_e32 v9, 0
	v_pk_mov_b32 v[32:33], s[6:7], s[6:7] op_sel:[0,1]
	;;#ASMSTART
	global_store_dwordx4 v[32:33], v[6:9] off	
s_waitcnt vmcnt(0)
	;;#ASMEND
	ds_write_b128 v9, v[2:5] offset:7168
.LBB30_52:
	s_or_b64 exec, exec, s[8:9]
	v_cmp_eq_u32_e32 vcc, 0, v0
	s_and_b64 exec, exec, vcc
	s_cbranch_execz .LBB30_54
; %bb.53:
	v_mov_b32_e32 v2, 0
	ds_write_b64 v2, v[4:5] offset:24
.LBB30_54:
	s_or_b64 exec, exec, s[14:15]
	v_mov_b32_e32 v5, 0
	s_waitcnt lgkmcnt(0)
	s_barrier
	ds_read_b64 v[2:3], v5 offset:24
	v_cndmask_b32_e64 v1, v1, v30, s[12:13]
	v_cmp_ne_u32_e32 vcc, 0, v0
	v_cndmask_b32_e64 v4, v38, v31, s[12:13]
	v_cndmask_b32_e32 v1, 0, v1, vcc
	v_cndmask_b32_e32 v4, 0, v4, vcc
	s_waitcnt lgkmcnt(0)
	v_add_co_u32_e32 v38, vcc, v2, v1
	v_addc_co_u32_e32 v39, vcc, v3, v4, vcc
	v_add_co_u32_e32 v36, vcc, v38, v26
	v_addc_co_u32_e32 v37, vcc, 0, v39, vcc
	;; [unrolled: 2-line block ×4, first 2 shown]
	v_add_co_u32_e32 v30, vcc, v32, v20
	s_barrier
	ds_read_b128 v[4:7], v5 offset:7168
	v_addc_co_u32_e32 v31, vcc, 0, v33, vcc
	v_add_co_u32_e32 v2, vcc, v30, v18
	v_addc_co_u32_e32 v3, vcc, 0, v31, vcc
	v_add_co_u32_e32 v8, vcc, v2, v16
	v_addc_co_u32_e32 v9, vcc, 0, v3, vcc
	s_waitcnt lgkmcnt(0)
	v_readfirstlane_b32 s9, v7
	v_readfirstlane_b32 s8, v6
	s_load_dwordx2 s[6:7], s[4:5], 0x30
	s_branch .LBB30_67
.LBB30_55:
                                        ; implicit-def: $sgpr8_sgpr9
                                        ; implicit-def: $vgpr4_vgpr5
                                        ; implicit-def: $vgpr8_vgpr9
                                        ; implicit-def: $vgpr2_vgpr3
                                        ; implicit-def: $vgpr30_vgpr31
                                        ; implicit-def: $vgpr32_vgpr33
                                        ; implicit-def: $vgpr34_vgpr35
                                        ; implicit-def: $vgpr36_vgpr37
                                        ; implicit-def: $vgpr38_vgpr39
	s_load_dwordx2 s[6:7], s[4:5], 0x30
	s_cbranch_execz .LBB30_67
; %bb.56:
	v_mov_b32_dpp v1, v28 row_shr:1 row_mask:0xf bank_mask:0xf
	v_add_co_u32_e32 v1, vcc, v28, v1
	v_mov_b32_e32 v2, 0
	v_addc_co_u32_e32 v3, vcc, 0, v29, vcc
	s_nop 0
	v_mov_b32_dpp v2, v2 row_shr:1 row_mask:0xf bank_mask:0xf
	v_add_co_u32_e32 v4, vcc, 0, v1
	v_addc_co_u32_e32 v2, vcc, v2, v3, vcc
	v_cndmask_b32_e64 v1, v1, v28, s[2:3]
	v_cndmask_b32_e64 v3, v2, 0, s[2:3]
	;; [unrolled: 1-line block ×3, first 2 shown]
	v_mov_b32_dpp v5, v1 row_shr:2 row_mask:0xf bank_mask:0xf
	v_cndmask_b32_e64 v2, v2, v29, s[2:3]
	v_mov_b32_dpp v6, v3 row_shr:2 row_mask:0xf bank_mask:0xf
	v_add_co_u32_e32 v5, vcc, v5, v4
	v_addc_co_u32_e32 v6, vcc, v6, v2, vcc
	v_cndmask_b32_e64 v1, v1, v5, s[0:1]
	v_cndmask_b32_e64 v3, v3, v6, s[0:1]
	;; [unrolled: 1-line block ×3, first 2 shown]
	v_mov_b32_dpp v5, v1 row_shr:4 row_mask:0xf bank_mask:0xf
	v_cndmask_b32_e64 v2, v2, v6, s[0:1]
	v_mov_b32_dpp v6, v3 row_shr:4 row_mask:0xf bank_mask:0xf
	v_add_co_u32_e32 v5, vcc, v5, v4
	v_addc_co_u32_e32 v6, vcc, v6, v2, vcc
	v_cmp_lt_u32_e32 vcc, 3, v27
	v_cndmask_b32_e32 v1, v1, v5, vcc
	v_cndmask_b32_e32 v3, v3, v6, vcc
	;; [unrolled: 1-line block ×3, first 2 shown]
	v_mov_b32_dpp v5, v1 row_shr:8 row_mask:0xf bank_mask:0xf
	v_cndmask_b32_e32 v2, v2, v6, vcc
	v_mov_b32_dpp v6, v3 row_shr:8 row_mask:0xf bank_mask:0xf
	v_add_co_u32_e32 v5, vcc, v5, v4
	v_addc_co_u32_e32 v6, vcc, v6, v2, vcc
	v_cmp_lt_u32_e32 vcc, 7, v27
	v_cndmask_b32_e32 v8, v1, v5, vcc
	v_cndmask_b32_e32 v7, v3, v6, vcc
	;; [unrolled: 1-line block ×4, first 2 shown]
	v_mov_b32_dpp v3, v8 row_bcast:15 row_mask:0xf bank_mask:0xf
	v_mov_b32_dpp v4, v7 row_bcast:15 row_mask:0xf bank_mask:0xf
	v_add_co_u32_e32 v3, vcc, v3, v2
	v_addc_co_u32_e32 v5, vcc, v4, v1, vcc
	v_cmp_eq_u32_e64 s[0:1], 0, v25
	v_cndmask_b32_e64 v6, v5, v7, s[0:1]
	v_cndmask_b32_e64 v4, v3, v8, s[0:1]
	v_cmp_eq_u32_e32 vcc, 0, v21
	v_mov_b32_dpp v6, v6 row_bcast:31 row_mask:0xf bank_mask:0xf
	v_mov_b32_dpp v4, v4 row_bcast:31 row_mask:0xf bank_mask:0xf
	v_cmp_ne_u32_e64 s[2:3], 0, v21
	s_and_saveexec_b64 s[4:5], s[2:3]
; %bb.57:
	v_cndmask_b32_e64 v1, v5, v1, s[0:1]
	v_cndmask_b32_e64 v2, v3, v2, s[0:1]
	v_cmp_lt_u32_e64 s[0:1], 31, v21
	v_cndmask_b32_e64 v4, 0, v4, s[0:1]
	v_cndmask_b32_e64 v3, 0, v6, s[0:1]
	v_add_co_u32_e64 v28, s[0:1], v4, v2
	v_addc_co_u32_e64 v29, s[0:1], v3, v1, s[0:1]
; %bb.58:
	s_or_b64 exec, exec, s[4:5]
	v_or_b32_e32 v2, 63, v0
	v_lshrrev_b32_e32 v1, 6, v0
	v_cmp_eq_u32_e64 s[0:1], v2, v0
	s_and_saveexec_b64 s[2:3], s[0:1]
	s_cbranch_execz .LBB30_60
; %bb.59:
	v_lshlrev_b32_e32 v2, 3, v1
	ds_write_b64 v2, v[28:29]
.LBB30_60:
	s_or_b64 exec, exec, s[2:3]
	v_cmp_gt_u32_e64 s[0:1], 4, v0
	s_waitcnt lgkmcnt(0)
	s_barrier
	s_and_saveexec_b64 s[4:5], s[0:1]
	s_cbranch_execz .LBB30_62
; %bb.61:
	v_add_u32_e32 v4, v23, v0
	ds_read_b64 v[2:3], v4
	v_and_b32_e32 v5, 3, v21
	v_cmp_ne_u32_e64 s[2:3], 1, v5
	s_waitcnt lgkmcnt(0)
	v_mov_b32_dpp v6, v2 row_shr:1 row_mask:0xf bank_mask:0xf
	v_add_co_u32_e64 v6, s[0:1], v2, v6
	v_addc_co_u32_e64 v8, s[0:1], 0, v3, s[0:1]
	v_mov_b32_dpp v7, v3 row_shr:1 row_mask:0xf bank_mask:0xf
	v_add_co_u32_e64 v9, s[0:1], 0, v6
	v_addc_co_u32_e64 v7, s[0:1], v7, v8, s[0:1]
	v_cmp_eq_u32_e64 s[0:1], 0, v5
	v_cndmask_b32_e64 v6, v6, v2, s[0:1]
	v_cndmask_b32_e64 v8, v7, v3, s[0:1]
	s_nop 0
	v_mov_b32_dpp v6, v6 row_shr:2 row_mask:0xf bank_mask:0xf
	v_mov_b32_dpp v8, v8 row_shr:2 row_mask:0xf bank_mask:0xf
	v_cndmask_b32_e64 v5, 0, v6, s[2:3]
	v_cndmask_b32_e64 v6, 0, v8, s[2:3]
	v_add_co_u32_e64 v5, s[2:3], v5, v9
	v_addc_co_u32_e64 v6, s[2:3], v6, v7, s[2:3]
	v_cndmask_b32_e64 v3, v6, v3, s[0:1]
	v_cndmask_b32_e64 v2, v5, v2, s[0:1]
	ds_write_b64 v4, v[2:3]
.LBB30_62:
	s_or_b64 exec, exec, s[4:5]
	v_cmp_lt_u32_e64 s[0:1], 63, v0
	v_pk_mov_b32 v[2:3], 0, 0
	s_waitcnt lgkmcnt(0)
	s_barrier
	s_and_saveexec_b64 s[2:3], s[0:1]
	s_cbranch_execz .LBB30_64
; %bb.63:
	v_lshl_add_u32 v1, v1, 3, -8
	ds_read_b64 v[2:3], v1
.LBB30_64:
	s_or_b64 exec, exec, s[2:3]
	s_waitcnt lgkmcnt(0)
	v_add_co_u32_e64 v1, s[0:1], v2, v28
	v_addc_co_u32_e64 v4, s[0:1], v3, v29, s[0:1]
	v_add_u32_e32 v5, -1, v21
	v_and_b32_e32 v6, 64, v21
	v_cmp_lt_i32_e64 s[0:1], v5, v6
	v_cndmask_b32_e64 v5, v5, v21, s[0:1]
	v_lshlrev_b32_e32 v5, 2, v5
	v_mov_b32_e32 v7, 0
	ds_bpermute_b32 v1, v5, v1
	ds_bpermute_b32 v8, v5, v4
	ds_read_b64 v[4:5], v7 offset:24
	v_cmp_eq_u32_e64 s[0:1], 0, v0
	s_and_saveexec_b64 s[2:3], s[0:1]
	s_cbranch_execz .LBB30_66
; %bb.65:
	s_add_u32 s4, s24, 0x400
	s_addc_u32 s5, s25, 0
	v_mov_b32_e32 v6, 2
	v_pk_mov_b32 v[28:29], s[4:5], s[4:5] op_sel:[0,1]
	s_waitcnt lgkmcnt(0)
	;;#ASMSTART
	global_store_dwordx4 v[28:29], v[4:7] off	
s_waitcnt vmcnt(0)
	;;#ASMEND
.LBB30_66:
	s_or_b64 exec, exec, s[2:3]
	s_waitcnt lgkmcnt(2)
	v_cndmask_b32_e32 v1, v1, v2, vcc
	s_waitcnt lgkmcnt(1)
	v_cndmask_b32_e32 v2, v8, v3, vcc
	v_cndmask_b32_e64 v38, v1, 0, s[0:1]
	v_cndmask_b32_e64 v39, v2, 0, s[0:1]
	v_add_co_u32_e32 v36, vcc, v38, v26
	v_addc_co_u32_e32 v37, vcc, 0, v39, vcc
	v_add_co_u32_e32 v34, vcc, v36, v24
	v_addc_co_u32_e32 v35, vcc, 0, v37, vcc
	;; [unrolled: 2-line block ×6, first 2 shown]
	s_waitcnt lgkmcnt(0)
	s_barrier
	s_mov_b64 s[8:9], 0
.LBB30_67:
	s_mov_b64 s[0:1], 0x101
	v_cmp_gt_u64_e32 vcc, s[0:1], v[4:5]
	s_mov_b64 s[0:1], -1
	s_cbranch_vccnz .LBB30_71
; %bb.68:
	s_and_b64 vcc, exec, s[0:1]
	s_cbranch_vccnz .LBB30_93
.LBB30_69:
	v_cmp_eq_u32_e32 vcc, 0, v0
	s_and_b64 s[0:1], vcc, s[20:21]
	s_and_saveexec_b64 s[2:3], s[0:1]
	s_cbranch_execnz .LBB30_112
.LBB30_70:
	s_endpgm
.LBB30_71:
	v_mov_b32_e32 v1, s9
	v_add_co_u32_e32 v6, vcc, s8, v4
	v_addc_co_u32_e32 v7, vcc, v1, v5, vcc
	s_lshl_b64 s[0:1], s[18:19], 2
	s_waitcnt lgkmcnt(0)
	s_add_u32 s2, s6, s0
	v_cmp_lt_u64_e32 vcc, v[38:39], v[6:7]
	s_addc_u32 s3, s7, s1
	s_or_b64 s[4:5], s[22:23], vcc
	s_and_saveexec_b64 s[0:1], s[4:5]
	s_cbranch_execz .LBB30_74
; %bb.72:
	v_cmp_eq_u32_e32 vcc, 1, v26
	s_and_b64 exec, exec, vcc
	s_cbranch_execz .LBB30_74
; %bb.73:
	v_lshlrev_b64 v[28:29], 2, v[38:39]
	v_mov_b32_e32 v1, s3
	v_add_co_u32_e32 v28, vcc, s2, v28
	v_addc_co_u32_e32 v29, vcc, v1, v29, vcc
	global_store_dword v[28:29], v14, off
.LBB30_74:
	s_or_b64 exec, exec, s[0:1]
	v_cmp_lt_u64_e32 vcc, v[36:37], v[6:7]
	s_or_b64 s[4:5], s[22:23], vcc
	s_and_saveexec_b64 s[0:1], s[4:5]
	s_cbranch_execz .LBB30_77
; %bb.75:
	v_cmp_eq_u32_e32 vcc, 1, v24
	s_and_b64 exec, exec, vcc
	s_cbranch_execz .LBB30_77
; %bb.76:
	v_lshlrev_b64 v[28:29], 2, v[36:37]
	v_mov_b32_e32 v1, s3
	v_add_co_u32_e32 v28, vcc, s2, v28
	v_addc_co_u32_e32 v29, vcc, v1, v29, vcc
	global_store_dword v[28:29], v15, off
.LBB30_77:
	s_or_b64 exec, exec, s[0:1]
	v_cmp_lt_u64_e32 vcc, v[34:35], v[6:7]
	;; [unrolled: 16-line block ×6, first 2 shown]
	s_or_b64 s[4:5], s[22:23], vcc
	s_and_saveexec_b64 s[0:1], s[4:5]
	s_cbranch_execz .LBB30_92
; %bb.90:
	v_cmp_eq_u32_e32 vcc, 1, v19
	s_and_b64 exec, exec, vcc
	s_cbranch_execz .LBB30_92
; %bb.91:
	v_lshlrev_b64 v[6:7], 2, v[8:9]
	v_mov_b32_e32 v1, s3
	v_add_co_u32_e32 v6, vcc, s2, v6
	v_addc_co_u32_e32 v7, vcc, v1, v7, vcc
	global_store_dword v[6:7], v17, off
.LBB30_92:
	s_or_b64 exec, exec, s[0:1]
	s_branch .LBB30_69
.LBB30_93:
	v_cmp_eq_u32_e32 vcc, 1, v26
	s_and_saveexec_b64 s[0:1], vcc
	s_cbranch_execnz .LBB30_113
; %bb.94:
	s_or_b64 exec, exec, s[0:1]
	v_cmp_eq_u32_e32 vcc, 1, v24
	s_and_saveexec_b64 s[0:1], vcc
	s_cbranch_execnz .LBB30_114
.LBB30_95:
	s_or_b64 exec, exec, s[0:1]
	v_cmp_eq_u32_e32 vcc, 1, v22
	s_and_saveexec_b64 s[0:1], vcc
	s_cbranch_execnz .LBB30_115
.LBB30_96:
	s_or_b64 exec, exec, s[0:1]
	v_cmp_eq_u32_e32 vcc, 1, v20
	s_and_saveexec_b64 s[0:1], vcc
	s_cbranch_execnz .LBB30_116
.LBB30_97:
	s_or_b64 exec, exec, s[0:1]
	v_cmp_eq_u32_e32 vcc, 1, v18
	s_and_saveexec_b64 s[0:1], vcc
	s_cbranch_execnz .LBB30_117
.LBB30_98:
	s_or_b64 exec, exec, s[0:1]
	v_cmp_eq_u32_e32 vcc, 1, v16
	s_and_saveexec_b64 s[0:1], vcc
	s_cbranch_execnz .LBB30_118
.LBB30_99:
	s_or_b64 exec, exec, s[0:1]
	v_cmp_eq_u32_e32 vcc, 1, v19
	s_and_saveexec_b64 s[0:1], vcc
	s_cbranch_execz .LBB30_101
.LBB30_100:
	v_subrev_u32_e32 v1, s8, v8
	v_lshlrev_b32_e32 v1, 2, v1
	ds_write_b32 v1, v17
.LBB30_101:
	s_or_b64 exec, exec, s[0:1]
	v_mov_b32_e32 v1, 0
	v_cmp_gt_u64_e32 vcc, v[4:5], v[0:1]
	s_waitcnt lgkmcnt(0)
	s_barrier
	s_and_saveexec_b64 s[10:11], vcc
	s_cbranch_execz .LBB30_111
; %bb.102:
	v_not_b32_e32 v3, v0
	v_not_b32_e32 v2, 0
	v_add_co_u32_e32 v6, vcc, v4, v3
	v_addc_co_u32_e32 v7, vcc, v5, v2, vcc
	s_mov_b64 s[0:1], 0x2f00
	s_mov_b64 s[2:3], 0x2eff
	v_cmp_gt_u64_e64 s[0:1], s[0:1], v[6:7]
	v_cmp_lt_u64_e32 vcc, s[2:3], v[6:7]
	v_mov_b32_e32 v8, v0
	v_pk_mov_b32 v[2:3], v[0:1], v[0:1] op_sel:[0,1]
	s_and_saveexec_b64 s[12:13], vcc
	s_cbranch_execz .LBB30_108
; %bb.103:
	v_alignbit_b32 v2, v7, v6, 8
	s_mov_b32 s2, 0xffffff
	s_mov_b32 s4, -1
	v_lshlrev_b32_e32 v3, 8, v2
	v_cmp_lt_u32_e32 vcc, s2, v2
	v_not_b32_e32 v2, v0
	s_movk_i32 s5, 0xff
	v_cmp_gt_u32_e64 s[2:3], v3, v2
	v_xor_b32_e32 v2, 0xfffffeff, v0
	v_cmp_lt_u64_e64 s[4:5], s[4:5], v[6:7]
	s_or_b64 s[14:15], s[2:3], vcc
	v_cmp_lt_u32_e64 s[2:3], v2, v3
	s_or_b64 s[4:5], vcc, s[4:5]
	s_or_b64 s[2:3], s[4:5], s[2:3]
	s_or_b64 s[4:5], s[14:15], s[2:3]
	s_mov_b64 s[2:3], -1
	s_xor_b64 s[14:15], s[4:5], -1
	v_mov_b32_e32 v8, v0
	v_pk_mov_b32 v[2:3], v[0:1], v[0:1] op_sel:[0,1]
	s_and_saveexec_b64 s[4:5], s[14:15]
	s_cbranch_execz .LBB30_107
; %bb.104:
	s_lshl_b64 s[2:3], s[8:9], 2
	s_lshl_b64 s[14:15], s[18:19], 2
	s_add_u32 s2, s2, s14
	v_lshrrev_b64 v[2:3], 8, v[6:7]
	s_addc_u32 s3, s3, s15
	v_add_co_u32_e32 v10, vcc, 1, v2
	s_add_u32 s2, s6, s2
	v_addc_co_u32_e32 v11, vcc, 0, v3, vcc
	v_lshlrev_b32_e32 v6, 2, v0
	s_addc_u32 s3, s7, s3
	v_mov_b32_e32 v7, s3
	v_add_co_u32_e32 v6, vcc, s2, v6
	v_addc_co_u32_e32 v7, vcc, 0, v7, vcc
	s_movk_i32 s2, 0x400
	v_or_b32_e32 v2, 0x100, v0
	v_mov_b32_e32 v3, v1
	v_add_co_u32_e32 v14, vcc, s2, v6
	v_and_b32_e32 v12, -2, v10
	v_mov_b32_e32 v13, v11
	v_addc_co_u32_e32 v15, vcc, 0, v7, vcc
	v_pk_mov_b32 v[8:9], v[2:3], v[2:3] op_sel:[0,1]
	s_mov_b64 s[14:15], 0
	v_pk_mov_b32 v[16:17], v[12:13], v[12:13] op_sel:[0,1]
	v_pk_mov_b32 v[6:7], v[0:1], v[0:1] op_sel:[0,1]
.LBB30_105:                             ; =>This Inner Loop Header: Depth=1
	v_lshlrev_b32_e32 v1, 2, v6
	v_lshlrev_b32_e32 v2, 2, v8
	ds_read_b32 v1, v1
	ds_read_b32 v2, v2
	v_add_co_u32_e32 v8, vcc, 0x200, v8
	v_addc_co_u32_e32 v9, vcc, 0, v9, vcc
	v_add_co_u32_e64 v16, s[2:3], -2, v16
	v_add_co_u32_e32 v6, vcc, 0x200, v6
	v_addc_co_u32_e64 v17, s[2:3], -1, v17, s[2:3]
	v_addc_co_u32_e32 v7, vcc, 0, v7, vcc
	v_cmp_eq_u64_e64 s[2:3], 0, v[16:17]
	s_waitcnt lgkmcnt(1)
	global_store_dword v[14:15], v1, off offset:-1024
	s_waitcnt lgkmcnt(0)
	global_store_dword v[14:15], v2, off
	v_add_co_u32_e32 v14, vcc, 0x800, v14
	s_or_b64 s[14:15], s[2:3], s[14:15]
	v_addc_co_u32_e32 v15, vcc, 0, v15, vcc
	s_andn2_b64 exec, exec, s[14:15]
	s_cbranch_execnz .LBB30_105
; %bb.106:
	s_or_b64 exec, exec, s[14:15]
	v_lshlrev_b64 v[2:3], 8, v[12:13]
	v_cmp_ne_u64_e32 vcc, v[10:11], v[12:13]
	v_or_b32_e32 v3, 0, v3
	v_or_b32_e32 v2, v2, v0
	v_lshl_or_b32 v8, v12, 8, v0
	s_orn2_b64 s[2:3], vcc, exec
.LBB30_107:
	s_or_b64 exec, exec, s[4:5]
	s_andn2_b64 s[0:1], s[0:1], exec
	s_and_b64 s[2:3], s[2:3], exec
	s_or_b64 s[0:1], s[0:1], s[2:3]
.LBB30_108:
	s_or_b64 exec, exec, s[12:13]
	s_and_b64 exec, exec, s[0:1]
	s_cbranch_execz .LBB30_111
; %bb.109:
	s_lshl_b64 s[0:1], s[8:9], 2
	s_add_u32 s2, s6, s0
	s_addc_u32 s3, s7, s1
	s_lshl_b64 s[0:1], s[18:19], 2
	s_add_u32 s4, s2, s0
	s_addc_u32 s0, s3, s1
	v_add_u32_e32 v6, 0x100, v8
	s_mov_b64 s[2:3], 0
	v_mov_b32_e32 v1, s0
	v_mov_b32_e32 v7, 0
.LBB30_110:                             ; =>This Inner Loop Header: Depth=1
	v_lshlrev_b32_e32 v10, 2, v2
	ds_read_b32 v10, v10
	v_lshlrev_b64 v[8:9], 2, v[2:3]
	v_cmp_le_u64_e32 vcc, v[4:5], v[6:7]
	v_add_co_u32_e64 v8, s[0:1], s4, v8
	v_pk_mov_b32 v[2:3], v[6:7], v[6:7] op_sel:[0,1]
	v_add_u32_e32 v6, 0x100, v6
	v_addc_co_u32_e64 v9, s[0:1], v1, v9, s[0:1]
	s_or_b64 s[2:3], vcc, s[2:3]
	s_waitcnt lgkmcnt(0)
	global_store_dword v[8:9], v10, off
	s_andn2_b64 exec, exec, s[2:3]
	s_cbranch_execnz .LBB30_110
.LBB30_111:
	s_or_b64 exec, exec, s[10:11]
	v_cmp_eq_u32_e32 vcc, 0, v0
	s_and_b64 s[0:1], vcc, s[20:21]
	s_and_saveexec_b64 s[2:3], s[0:1]
	s_cbranch_execz .LBB30_70
.LBB30_112:
	v_mov_b32_e32 v0, s9
	v_add_co_u32_e32 v1, vcc, s8, v4
	v_addc_co_u32_e32 v3, vcc, v0, v5, vcc
	v_mov_b32_e32 v4, s19
	v_add_co_u32_e32 v0, vcc, s18, v1
	v_mov_b32_e32 v2, 0
	v_addc_co_u32_e32 v1, vcc, v3, v4, vcc
	global_store_dwordx2 v2, v[0:1], s[16:17]
	s_endpgm
.LBB30_113:
	v_subrev_u32_e32 v1, s8, v38
	v_lshlrev_b32_e32 v1, 2, v1
	ds_write_b32 v1, v14
	s_or_b64 exec, exec, s[0:1]
	v_cmp_eq_u32_e32 vcc, 1, v24
	s_and_saveexec_b64 s[0:1], vcc
	s_cbranch_execz .LBB30_95
.LBB30_114:
	v_subrev_u32_e32 v1, s8, v36
	v_lshlrev_b32_e32 v1, 2, v1
	ds_write_b32 v1, v15
	s_or_b64 exec, exec, s[0:1]
	v_cmp_eq_u32_e32 vcc, 1, v22
	s_and_saveexec_b64 s[0:1], vcc
	s_cbranch_execz .LBB30_96
.LBB30_115:
	v_subrev_u32_e32 v1, s8, v34
	v_lshlrev_b32_e32 v1, 2, v1
	ds_write_b32 v1, v12
	s_or_b64 exec, exec, s[0:1]
	v_cmp_eq_u32_e32 vcc, 1, v20
	s_and_saveexec_b64 s[0:1], vcc
	s_cbranch_execz .LBB30_97
.LBB30_116:
	v_subrev_u32_e32 v1, s8, v32
	v_lshlrev_b32_e32 v1, 2, v1
	ds_write_b32 v1, v13
	s_or_b64 exec, exec, s[0:1]
	v_cmp_eq_u32_e32 vcc, 1, v18
	s_and_saveexec_b64 s[0:1], vcc
	s_cbranch_execz .LBB30_98
.LBB30_117:
	v_subrev_u32_e32 v1, s8, v30
	v_lshlrev_b32_e32 v1, 2, v1
	ds_write_b32 v1, v10
	s_or_b64 exec, exec, s[0:1]
	v_cmp_eq_u32_e32 vcc, 1, v16
	s_and_saveexec_b64 s[0:1], vcc
	s_cbranch_execz .LBB30_99
.LBB30_118:
	v_subrev_u32_e32 v1, s8, v2
	v_lshlrev_b32_e32 v1, 2, v1
	ds_write_b32 v1, v11
	s_or_b64 exec, exec, s[0:1]
	v_cmp_eq_u32_e32 vcc, 1, v19
	s_and_saveexec_b64 s[0:1], vcc
	s_cbranch_execnz .LBB30_100
	s_branch .LBB30_101
	.section	.rodata,"a",@progbits
	.p2align	6, 0x0
	.amdhsa_kernel _ZN7rocprim17ROCPRIM_400000_NS6detail17trampoline_kernelINS0_14default_configENS1_25partition_config_selectorILNS1_17partition_subalgoE5EiNS0_10empty_typeEbEEZZNS1_14partition_implILS5_5ELb0ES3_mN6thrust23THRUST_200600_302600_NS17counting_iteratorIiNSA_11use_defaultESC_SC_EEPS6_NSA_18transform_iteratorINSA_8identityIiEENSA_6detail15normal_iteratorINSA_10device_ptrIiEEEESC_SC_EENS0_5tupleIJSM_S6_EEENSO_IJSE_SE_EEES6_PlJS6_EEE10hipError_tPvRmT3_T4_T5_T6_T7_T9_mT8_P12ihipStream_tbDpT10_ENKUlT_T0_E_clISt17integral_constantIbLb1EES1A_IbLb0EEEEDaS16_S17_EUlS16_E_NS1_11comp_targetILNS1_3genE4ELNS1_11target_archE910ELNS1_3gpuE8ELNS1_3repE0EEENS1_30default_config_static_selectorELNS0_4arch9wavefront6targetE1EEEvT1_
		.amdhsa_group_segment_fixed_size 7184
		.amdhsa_private_segment_fixed_size 0
		.amdhsa_kernarg_size 120
		.amdhsa_user_sgpr_count 6
		.amdhsa_user_sgpr_private_segment_buffer 1
		.amdhsa_user_sgpr_dispatch_ptr 0
		.amdhsa_user_sgpr_queue_ptr 0
		.amdhsa_user_sgpr_kernarg_segment_ptr 1
		.amdhsa_user_sgpr_dispatch_id 0
		.amdhsa_user_sgpr_flat_scratch_init 0
		.amdhsa_user_sgpr_kernarg_preload_length 0
		.amdhsa_user_sgpr_kernarg_preload_offset 0
		.amdhsa_user_sgpr_private_segment_size 0
		.amdhsa_uses_dynamic_stack 0
		.amdhsa_system_sgpr_private_segment_wavefront_offset 0
		.amdhsa_system_sgpr_workgroup_id_x 1
		.amdhsa_system_sgpr_workgroup_id_y 0
		.amdhsa_system_sgpr_workgroup_id_z 0
		.amdhsa_system_sgpr_workgroup_info 0
		.amdhsa_system_vgpr_workitem_id 0
		.amdhsa_next_free_vgpr 56
		.amdhsa_next_free_sgpr 28
		.amdhsa_accum_offset 56
		.amdhsa_reserve_vcc 1
		.amdhsa_reserve_flat_scratch 0
		.amdhsa_float_round_mode_32 0
		.amdhsa_float_round_mode_16_64 0
		.amdhsa_float_denorm_mode_32 3
		.amdhsa_float_denorm_mode_16_64 3
		.amdhsa_dx10_clamp 1
		.amdhsa_ieee_mode 1
		.amdhsa_fp16_overflow 0
		.amdhsa_tg_split 0
		.amdhsa_exception_fp_ieee_invalid_op 0
		.amdhsa_exception_fp_denorm_src 0
		.amdhsa_exception_fp_ieee_div_zero 0
		.amdhsa_exception_fp_ieee_overflow 0
		.amdhsa_exception_fp_ieee_underflow 0
		.amdhsa_exception_fp_ieee_inexact 0
		.amdhsa_exception_int_div_zero 0
	.end_amdhsa_kernel
	.section	.text._ZN7rocprim17ROCPRIM_400000_NS6detail17trampoline_kernelINS0_14default_configENS1_25partition_config_selectorILNS1_17partition_subalgoE5EiNS0_10empty_typeEbEEZZNS1_14partition_implILS5_5ELb0ES3_mN6thrust23THRUST_200600_302600_NS17counting_iteratorIiNSA_11use_defaultESC_SC_EEPS6_NSA_18transform_iteratorINSA_8identityIiEENSA_6detail15normal_iteratorINSA_10device_ptrIiEEEESC_SC_EENS0_5tupleIJSM_S6_EEENSO_IJSE_SE_EEES6_PlJS6_EEE10hipError_tPvRmT3_T4_T5_T6_T7_T9_mT8_P12ihipStream_tbDpT10_ENKUlT_T0_E_clISt17integral_constantIbLb1EES1A_IbLb0EEEEDaS16_S17_EUlS16_E_NS1_11comp_targetILNS1_3genE4ELNS1_11target_archE910ELNS1_3gpuE8ELNS1_3repE0EEENS1_30default_config_static_selectorELNS0_4arch9wavefront6targetE1EEEvT1_,"axG",@progbits,_ZN7rocprim17ROCPRIM_400000_NS6detail17trampoline_kernelINS0_14default_configENS1_25partition_config_selectorILNS1_17partition_subalgoE5EiNS0_10empty_typeEbEEZZNS1_14partition_implILS5_5ELb0ES3_mN6thrust23THRUST_200600_302600_NS17counting_iteratorIiNSA_11use_defaultESC_SC_EEPS6_NSA_18transform_iteratorINSA_8identityIiEENSA_6detail15normal_iteratorINSA_10device_ptrIiEEEESC_SC_EENS0_5tupleIJSM_S6_EEENSO_IJSE_SE_EEES6_PlJS6_EEE10hipError_tPvRmT3_T4_T5_T6_T7_T9_mT8_P12ihipStream_tbDpT10_ENKUlT_T0_E_clISt17integral_constantIbLb1EES1A_IbLb0EEEEDaS16_S17_EUlS16_E_NS1_11comp_targetILNS1_3genE4ELNS1_11target_archE910ELNS1_3gpuE8ELNS1_3repE0EEENS1_30default_config_static_selectorELNS0_4arch9wavefront6targetE1EEEvT1_,comdat
.Lfunc_end30:
	.size	_ZN7rocprim17ROCPRIM_400000_NS6detail17trampoline_kernelINS0_14default_configENS1_25partition_config_selectorILNS1_17partition_subalgoE5EiNS0_10empty_typeEbEEZZNS1_14partition_implILS5_5ELb0ES3_mN6thrust23THRUST_200600_302600_NS17counting_iteratorIiNSA_11use_defaultESC_SC_EEPS6_NSA_18transform_iteratorINSA_8identityIiEENSA_6detail15normal_iteratorINSA_10device_ptrIiEEEESC_SC_EENS0_5tupleIJSM_S6_EEENSO_IJSE_SE_EEES6_PlJS6_EEE10hipError_tPvRmT3_T4_T5_T6_T7_T9_mT8_P12ihipStream_tbDpT10_ENKUlT_T0_E_clISt17integral_constantIbLb1EES1A_IbLb0EEEEDaS16_S17_EUlS16_E_NS1_11comp_targetILNS1_3genE4ELNS1_11target_archE910ELNS1_3gpuE8ELNS1_3repE0EEENS1_30default_config_static_selectorELNS0_4arch9wavefront6targetE1EEEvT1_, .Lfunc_end30-_ZN7rocprim17ROCPRIM_400000_NS6detail17trampoline_kernelINS0_14default_configENS1_25partition_config_selectorILNS1_17partition_subalgoE5EiNS0_10empty_typeEbEEZZNS1_14partition_implILS5_5ELb0ES3_mN6thrust23THRUST_200600_302600_NS17counting_iteratorIiNSA_11use_defaultESC_SC_EEPS6_NSA_18transform_iteratorINSA_8identityIiEENSA_6detail15normal_iteratorINSA_10device_ptrIiEEEESC_SC_EENS0_5tupleIJSM_S6_EEENSO_IJSE_SE_EEES6_PlJS6_EEE10hipError_tPvRmT3_T4_T5_T6_T7_T9_mT8_P12ihipStream_tbDpT10_ENKUlT_T0_E_clISt17integral_constantIbLb1EES1A_IbLb0EEEEDaS16_S17_EUlS16_E_NS1_11comp_targetILNS1_3genE4ELNS1_11target_archE910ELNS1_3gpuE8ELNS1_3repE0EEENS1_30default_config_static_selectorELNS0_4arch9wavefront6targetE1EEEvT1_
                                        ; -- End function
	.section	.AMDGPU.csdata,"",@progbits
; Kernel info:
; codeLenInByte = 6476
; NumSgprs: 32
; NumVgprs: 56
; NumAgprs: 0
; TotalNumVgprs: 56
; ScratchSize: 0
; MemoryBound: 0
; FloatMode: 240
; IeeeMode: 1
; LDSByteSize: 7184 bytes/workgroup (compile time only)
; SGPRBlocks: 3
; VGPRBlocks: 6
; NumSGPRsForWavesPerEU: 32
; NumVGPRsForWavesPerEU: 56
; AccumOffset: 56
; Occupancy: 8
; WaveLimiterHint : 1
; COMPUTE_PGM_RSRC2:SCRATCH_EN: 0
; COMPUTE_PGM_RSRC2:USER_SGPR: 6
; COMPUTE_PGM_RSRC2:TRAP_HANDLER: 0
; COMPUTE_PGM_RSRC2:TGID_X_EN: 1
; COMPUTE_PGM_RSRC2:TGID_Y_EN: 0
; COMPUTE_PGM_RSRC2:TGID_Z_EN: 0
; COMPUTE_PGM_RSRC2:TIDIG_COMP_CNT: 0
; COMPUTE_PGM_RSRC3_GFX90A:ACCUM_OFFSET: 13
; COMPUTE_PGM_RSRC3_GFX90A:TG_SPLIT: 0
	.section	.text._ZN7rocprim17ROCPRIM_400000_NS6detail17trampoline_kernelINS0_14default_configENS1_25partition_config_selectorILNS1_17partition_subalgoE5EiNS0_10empty_typeEbEEZZNS1_14partition_implILS5_5ELb0ES3_mN6thrust23THRUST_200600_302600_NS17counting_iteratorIiNSA_11use_defaultESC_SC_EEPS6_NSA_18transform_iteratorINSA_8identityIiEENSA_6detail15normal_iteratorINSA_10device_ptrIiEEEESC_SC_EENS0_5tupleIJSM_S6_EEENSO_IJSE_SE_EEES6_PlJS6_EEE10hipError_tPvRmT3_T4_T5_T6_T7_T9_mT8_P12ihipStream_tbDpT10_ENKUlT_T0_E_clISt17integral_constantIbLb1EES1A_IbLb0EEEEDaS16_S17_EUlS16_E_NS1_11comp_targetILNS1_3genE3ELNS1_11target_archE908ELNS1_3gpuE7ELNS1_3repE0EEENS1_30default_config_static_selectorELNS0_4arch9wavefront6targetE1EEEvT1_,"axG",@progbits,_ZN7rocprim17ROCPRIM_400000_NS6detail17trampoline_kernelINS0_14default_configENS1_25partition_config_selectorILNS1_17partition_subalgoE5EiNS0_10empty_typeEbEEZZNS1_14partition_implILS5_5ELb0ES3_mN6thrust23THRUST_200600_302600_NS17counting_iteratorIiNSA_11use_defaultESC_SC_EEPS6_NSA_18transform_iteratorINSA_8identityIiEENSA_6detail15normal_iteratorINSA_10device_ptrIiEEEESC_SC_EENS0_5tupleIJSM_S6_EEENSO_IJSE_SE_EEES6_PlJS6_EEE10hipError_tPvRmT3_T4_T5_T6_T7_T9_mT8_P12ihipStream_tbDpT10_ENKUlT_T0_E_clISt17integral_constantIbLb1EES1A_IbLb0EEEEDaS16_S17_EUlS16_E_NS1_11comp_targetILNS1_3genE3ELNS1_11target_archE908ELNS1_3gpuE7ELNS1_3repE0EEENS1_30default_config_static_selectorELNS0_4arch9wavefront6targetE1EEEvT1_,comdat
	.protected	_ZN7rocprim17ROCPRIM_400000_NS6detail17trampoline_kernelINS0_14default_configENS1_25partition_config_selectorILNS1_17partition_subalgoE5EiNS0_10empty_typeEbEEZZNS1_14partition_implILS5_5ELb0ES3_mN6thrust23THRUST_200600_302600_NS17counting_iteratorIiNSA_11use_defaultESC_SC_EEPS6_NSA_18transform_iteratorINSA_8identityIiEENSA_6detail15normal_iteratorINSA_10device_ptrIiEEEESC_SC_EENS0_5tupleIJSM_S6_EEENSO_IJSE_SE_EEES6_PlJS6_EEE10hipError_tPvRmT3_T4_T5_T6_T7_T9_mT8_P12ihipStream_tbDpT10_ENKUlT_T0_E_clISt17integral_constantIbLb1EES1A_IbLb0EEEEDaS16_S17_EUlS16_E_NS1_11comp_targetILNS1_3genE3ELNS1_11target_archE908ELNS1_3gpuE7ELNS1_3repE0EEENS1_30default_config_static_selectorELNS0_4arch9wavefront6targetE1EEEvT1_ ; -- Begin function _ZN7rocprim17ROCPRIM_400000_NS6detail17trampoline_kernelINS0_14default_configENS1_25partition_config_selectorILNS1_17partition_subalgoE5EiNS0_10empty_typeEbEEZZNS1_14partition_implILS5_5ELb0ES3_mN6thrust23THRUST_200600_302600_NS17counting_iteratorIiNSA_11use_defaultESC_SC_EEPS6_NSA_18transform_iteratorINSA_8identityIiEENSA_6detail15normal_iteratorINSA_10device_ptrIiEEEESC_SC_EENS0_5tupleIJSM_S6_EEENSO_IJSE_SE_EEES6_PlJS6_EEE10hipError_tPvRmT3_T4_T5_T6_T7_T9_mT8_P12ihipStream_tbDpT10_ENKUlT_T0_E_clISt17integral_constantIbLb1EES1A_IbLb0EEEEDaS16_S17_EUlS16_E_NS1_11comp_targetILNS1_3genE3ELNS1_11target_archE908ELNS1_3gpuE7ELNS1_3repE0EEENS1_30default_config_static_selectorELNS0_4arch9wavefront6targetE1EEEvT1_
	.globl	_ZN7rocprim17ROCPRIM_400000_NS6detail17trampoline_kernelINS0_14default_configENS1_25partition_config_selectorILNS1_17partition_subalgoE5EiNS0_10empty_typeEbEEZZNS1_14partition_implILS5_5ELb0ES3_mN6thrust23THRUST_200600_302600_NS17counting_iteratorIiNSA_11use_defaultESC_SC_EEPS6_NSA_18transform_iteratorINSA_8identityIiEENSA_6detail15normal_iteratorINSA_10device_ptrIiEEEESC_SC_EENS0_5tupleIJSM_S6_EEENSO_IJSE_SE_EEES6_PlJS6_EEE10hipError_tPvRmT3_T4_T5_T6_T7_T9_mT8_P12ihipStream_tbDpT10_ENKUlT_T0_E_clISt17integral_constantIbLb1EES1A_IbLb0EEEEDaS16_S17_EUlS16_E_NS1_11comp_targetILNS1_3genE3ELNS1_11target_archE908ELNS1_3gpuE7ELNS1_3repE0EEENS1_30default_config_static_selectorELNS0_4arch9wavefront6targetE1EEEvT1_
	.p2align	8
	.type	_ZN7rocprim17ROCPRIM_400000_NS6detail17trampoline_kernelINS0_14default_configENS1_25partition_config_selectorILNS1_17partition_subalgoE5EiNS0_10empty_typeEbEEZZNS1_14partition_implILS5_5ELb0ES3_mN6thrust23THRUST_200600_302600_NS17counting_iteratorIiNSA_11use_defaultESC_SC_EEPS6_NSA_18transform_iteratorINSA_8identityIiEENSA_6detail15normal_iteratorINSA_10device_ptrIiEEEESC_SC_EENS0_5tupleIJSM_S6_EEENSO_IJSE_SE_EEES6_PlJS6_EEE10hipError_tPvRmT3_T4_T5_T6_T7_T9_mT8_P12ihipStream_tbDpT10_ENKUlT_T0_E_clISt17integral_constantIbLb1EES1A_IbLb0EEEEDaS16_S17_EUlS16_E_NS1_11comp_targetILNS1_3genE3ELNS1_11target_archE908ELNS1_3gpuE7ELNS1_3repE0EEENS1_30default_config_static_selectorELNS0_4arch9wavefront6targetE1EEEvT1_,@function
_ZN7rocprim17ROCPRIM_400000_NS6detail17trampoline_kernelINS0_14default_configENS1_25partition_config_selectorILNS1_17partition_subalgoE5EiNS0_10empty_typeEbEEZZNS1_14partition_implILS5_5ELb0ES3_mN6thrust23THRUST_200600_302600_NS17counting_iteratorIiNSA_11use_defaultESC_SC_EEPS6_NSA_18transform_iteratorINSA_8identityIiEENSA_6detail15normal_iteratorINSA_10device_ptrIiEEEESC_SC_EENS0_5tupleIJSM_S6_EEENSO_IJSE_SE_EEES6_PlJS6_EEE10hipError_tPvRmT3_T4_T5_T6_T7_T9_mT8_P12ihipStream_tbDpT10_ENKUlT_T0_E_clISt17integral_constantIbLb1EES1A_IbLb0EEEEDaS16_S17_EUlS16_E_NS1_11comp_targetILNS1_3genE3ELNS1_11target_archE908ELNS1_3gpuE7ELNS1_3repE0EEENS1_30default_config_static_selectorELNS0_4arch9wavefront6targetE1EEEvT1_: ; @_ZN7rocprim17ROCPRIM_400000_NS6detail17trampoline_kernelINS0_14default_configENS1_25partition_config_selectorILNS1_17partition_subalgoE5EiNS0_10empty_typeEbEEZZNS1_14partition_implILS5_5ELb0ES3_mN6thrust23THRUST_200600_302600_NS17counting_iteratorIiNSA_11use_defaultESC_SC_EEPS6_NSA_18transform_iteratorINSA_8identityIiEENSA_6detail15normal_iteratorINSA_10device_ptrIiEEEESC_SC_EENS0_5tupleIJSM_S6_EEENSO_IJSE_SE_EEES6_PlJS6_EEE10hipError_tPvRmT3_T4_T5_T6_T7_T9_mT8_P12ihipStream_tbDpT10_ENKUlT_T0_E_clISt17integral_constantIbLb1EES1A_IbLb0EEEEDaS16_S17_EUlS16_E_NS1_11comp_targetILNS1_3genE3ELNS1_11target_archE908ELNS1_3gpuE7ELNS1_3repE0EEENS1_30default_config_static_selectorELNS0_4arch9wavefront6targetE1EEEvT1_
; %bb.0:
	.section	.rodata,"a",@progbits
	.p2align	6, 0x0
	.amdhsa_kernel _ZN7rocprim17ROCPRIM_400000_NS6detail17trampoline_kernelINS0_14default_configENS1_25partition_config_selectorILNS1_17partition_subalgoE5EiNS0_10empty_typeEbEEZZNS1_14partition_implILS5_5ELb0ES3_mN6thrust23THRUST_200600_302600_NS17counting_iteratorIiNSA_11use_defaultESC_SC_EEPS6_NSA_18transform_iteratorINSA_8identityIiEENSA_6detail15normal_iteratorINSA_10device_ptrIiEEEESC_SC_EENS0_5tupleIJSM_S6_EEENSO_IJSE_SE_EEES6_PlJS6_EEE10hipError_tPvRmT3_T4_T5_T6_T7_T9_mT8_P12ihipStream_tbDpT10_ENKUlT_T0_E_clISt17integral_constantIbLb1EES1A_IbLb0EEEEDaS16_S17_EUlS16_E_NS1_11comp_targetILNS1_3genE3ELNS1_11target_archE908ELNS1_3gpuE7ELNS1_3repE0EEENS1_30default_config_static_selectorELNS0_4arch9wavefront6targetE1EEEvT1_
		.amdhsa_group_segment_fixed_size 0
		.amdhsa_private_segment_fixed_size 0
		.amdhsa_kernarg_size 120
		.amdhsa_user_sgpr_count 6
		.amdhsa_user_sgpr_private_segment_buffer 1
		.amdhsa_user_sgpr_dispatch_ptr 0
		.amdhsa_user_sgpr_queue_ptr 0
		.amdhsa_user_sgpr_kernarg_segment_ptr 1
		.amdhsa_user_sgpr_dispatch_id 0
		.amdhsa_user_sgpr_flat_scratch_init 0
		.amdhsa_user_sgpr_kernarg_preload_length 0
		.amdhsa_user_sgpr_kernarg_preload_offset 0
		.amdhsa_user_sgpr_private_segment_size 0
		.amdhsa_uses_dynamic_stack 0
		.amdhsa_system_sgpr_private_segment_wavefront_offset 0
		.amdhsa_system_sgpr_workgroup_id_x 1
		.amdhsa_system_sgpr_workgroup_id_y 0
		.amdhsa_system_sgpr_workgroup_id_z 0
		.amdhsa_system_sgpr_workgroup_info 0
		.amdhsa_system_vgpr_workitem_id 0
		.amdhsa_next_free_vgpr 1
		.amdhsa_next_free_sgpr 0
		.amdhsa_accum_offset 4
		.amdhsa_reserve_vcc 0
		.amdhsa_reserve_flat_scratch 0
		.amdhsa_float_round_mode_32 0
		.amdhsa_float_round_mode_16_64 0
		.amdhsa_float_denorm_mode_32 3
		.amdhsa_float_denorm_mode_16_64 3
		.amdhsa_dx10_clamp 1
		.amdhsa_ieee_mode 1
		.amdhsa_fp16_overflow 0
		.amdhsa_tg_split 0
		.amdhsa_exception_fp_ieee_invalid_op 0
		.amdhsa_exception_fp_denorm_src 0
		.amdhsa_exception_fp_ieee_div_zero 0
		.amdhsa_exception_fp_ieee_overflow 0
		.amdhsa_exception_fp_ieee_underflow 0
		.amdhsa_exception_fp_ieee_inexact 0
		.amdhsa_exception_int_div_zero 0
	.end_amdhsa_kernel
	.section	.text._ZN7rocprim17ROCPRIM_400000_NS6detail17trampoline_kernelINS0_14default_configENS1_25partition_config_selectorILNS1_17partition_subalgoE5EiNS0_10empty_typeEbEEZZNS1_14partition_implILS5_5ELb0ES3_mN6thrust23THRUST_200600_302600_NS17counting_iteratorIiNSA_11use_defaultESC_SC_EEPS6_NSA_18transform_iteratorINSA_8identityIiEENSA_6detail15normal_iteratorINSA_10device_ptrIiEEEESC_SC_EENS0_5tupleIJSM_S6_EEENSO_IJSE_SE_EEES6_PlJS6_EEE10hipError_tPvRmT3_T4_T5_T6_T7_T9_mT8_P12ihipStream_tbDpT10_ENKUlT_T0_E_clISt17integral_constantIbLb1EES1A_IbLb0EEEEDaS16_S17_EUlS16_E_NS1_11comp_targetILNS1_3genE3ELNS1_11target_archE908ELNS1_3gpuE7ELNS1_3repE0EEENS1_30default_config_static_selectorELNS0_4arch9wavefront6targetE1EEEvT1_,"axG",@progbits,_ZN7rocprim17ROCPRIM_400000_NS6detail17trampoline_kernelINS0_14default_configENS1_25partition_config_selectorILNS1_17partition_subalgoE5EiNS0_10empty_typeEbEEZZNS1_14partition_implILS5_5ELb0ES3_mN6thrust23THRUST_200600_302600_NS17counting_iteratorIiNSA_11use_defaultESC_SC_EEPS6_NSA_18transform_iteratorINSA_8identityIiEENSA_6detail15normal_iteratorINSA_10device_ptrIiEEEESC_SC_EENS0_5tupleIJSM_S6_EEENSO_IJSE_SE_EEES6_PlJS6_EEE10hipError_tPvRmT3_T4_T5_T6_T7_T9_mT8_P12ihipStream_tbDpT10_ENKUlT_T0_E_clISt17integral_constantIbLb1EES1A_IbLb0EEEEDaS16_S17_EUlS16_E_NS1_11comp_targetILNS1_3genE3ELNS1_11target_archE908ELNS1_3gpuE7ELNS1_3repE0EEENS1_30default_config_static_selectorELNS0_4arch9wavefront6targetE1EEEvT1_,comdat
.Lfunc_end31:
	.size	_ZN7rocprim17ROCPRIM_400000_NS6detail17trampoline_kernelINS0_14default_configENS1_25partition_config_selectorILNS1_17partition_subalgoE5EiNS0_10empty_typeEbEEZZNS1_14partition_implILS5_5ELb0ES3_mN6thrust23THRUST_200600_302600_NS17counting_iteratorIiNSA_11use_defaultESC_SC_EEPS6_NSA_18transform_iteratorINSA_8identityIiEENSA_6detail15normal_iteratorINSA_10device_ptrIiEEEESC_SC_EENS0_5tupleIJSM_S6_EEENSO_IJSE_SE_EEES6_PlJS6_EEE10hipError_tPvRmT3_T4_T5_T6_T7_T9_mT8_P12ihipStream_tbDpT10_ENKUlT_T0_E_clISt17integral_constantIbLb1EES1A_IbLb0EEEEDaS16_S17_EUlS16_E_NS1_11comp_targetILNS1_3genE3ELNS1_11target_archE908ELNS1_3gpuE7ELNS1_3repE0EEENS1_30default_config_static_selectorELNS0_4arch9wavefront6targetE1EEEvT1_, .Lfunc_end31-_ZN7rocprim17ROCPRIM_400000_NS6detail17trampoline_kernelINS0_14default_configENS1_25partition_config_selectorILNS1_17partition_subalgoE5EiNS0_10empty_typeEbEEZZNS1_14partition_implILS5_5ELb0ES3_mN6thrust23THRUST_200600_302600_NS17counting_iteratorIiNSA_11use_defaultESC_SC_EEPS6_NSA_18transform_iteratorINSA_8identityIiEENSA_6detail15normal_iteratorINSA_10device_ptrIiEEEESC_SC_EENS0_5tupleIJSM_S6_EEENSO_IJSE_SE_EEES6_PlJS6_EEE10hipError_tPvRmT3_T4_T5_T6_T7_T9_mT8_P12ihipStream_tbDpT10_ENKUlT_T0_E_clISt17integral_constantIbLb1EES1A_IbLb0EEEEDaS16_S17_EUlS16_E_NS1_11comp_targetILNS1_3genE3ELNS1_11target_archE908ELNS1_3gpuE7ELNS1_3repE0EEENS1_30default_config_static_selectorELNS0_4arch9wavefront6targetE1EEEvT1_
                                        ; -- End function
	.section	.AMDGPU.csdata,"",@progbits
; Kernel info:
; codeLenInByte = 0
; NumSgprs: 4
; NumVgprs: 0
; NumAgprs: 0
; TotalNumVgprs: 0
; ScratchSize: 0
; MemoryBound: 0
; FloatMode: 240
; IeeeMode: 1
; LDSByteSize: 0 bytes/workgroup (compile time only)
; SGPRBlocks: 0
; VGPRBlocks: 0
; NumSGPRsForWavesPerEU: 4
; NumVGPRsForWavesPerEU: 1
; AccumOffset: 4
; Occupancy: 8
; WaveLimiterHint : 0
; COMPUTE_PGM_RSRC2:SCRATCH_EN: 0
; COMPUTE_PGM_RSRC2:USER_SGPR: 6
; COMPUTE_PGM_RSRC2:TRAP_HANDLER: 0
; COMPUTE_PGM_RSRC2:TGID_X_EN: 1
; COMPUTE_PGM_RSRC2:TGID_Y_EN: 0
; COMPUTE_PGM_RSRC2:TGID_Z_EN: 0
; COMPUTE_PGM_RSRC2:TIDIG_COMP_CNT: 0
; COMPUTE_PGM_RSRC3_GFX90A:ACCUM_OFFSET: 0
; COMPUTE_PGM_RSRC3_GFX90A:TG_SPLIT: 0
	.section	.text._ZN7rocprim17ROCPRIM_400000_NS6detail17trampoline_kernelINS0_14default_configENS1_25partition_config_selectorILNS1_17partition_subalgoE5EiNS0_10empty_typeEbEEZZNS1_14partition_implILS5_5ELb0ES3_mN6thrust23THRUST_200600_302600_NS17counting_iteratorIiNSA_11use_defaultESC_SC_EEPS6_NSA_18transform_iteratorINSA_8identityIiEENSA_6detail15normal_iteratorINSA_10device_ptrIiEEEESC_SC_EENS0_5tupleIJSM_S6_EEENSO_IJSE_SE_EEES6_PlJS6_EEE10hipError_tPvRmT3_T4_T5_T6_T7_T9_mT8_P12ihipStream_tbDpT10_ENKUlT_T0_E_clISt17integral_constantIbLb1EES1A_IbLb0EEEEDaS16_S17_EUlS16_E_NS1_11comp_targetILNS1_3genE2ELNS1_11target_archE906ELNS1_3gpuE6ELNS1_3repE0EEENS1_30default_config_static_selectorELNS0_4arch9wavefront6targetE1EEEvT1_,"axG",@progbits,_ZN7rocprim17ROCPRIM_400000_NS6detail17trampoline_kernelINS0_14default_configENS1_25partition_config_selectorILNS1_17partition_subalgoE5EiNS0_10empty_typeEbEEZZNS1_14partition_implILS5_5ELb0ES3_mN6thrust23THRUST_200600_302600_NS17counting_iteratorIiNSA_11use_defaultESC_SC_EEPS6_NSA_18transform_iteratorINSA_8identityIiEENSA_6detail15normal_iteratorINSA_10device_ptrIiEEEESC_SC_EENS0_5tupleIJSM_S6_EEENSO_IJSE_SE_EEES6_PlJS6_EEE10hipError_tPvRmT3_T4_T5_T6_T7_T9_mT8_P12ihipStream_tbDpT10_ENKUlT_T0_E_clISt17integral_constantIbLb1EES1A_IbLb0EEEEDaS16_S17_EUlS16_E_NS1_11comp_targetILNS1_3genE2ELNS1_11target_archE906ELNS1_3gpuE6ELNS1_3repE0EEENS1_30default_config_static_selectorELNS0_4arch9wavefront6targetE1EEEvT1_,comdat
	.protected	_ZN7rocprim17ROCPRIM_400000_NS6detail17trampoline_kernelINS0_14default_configENS1_25partition_config_selectorILNS1_17partition_subalgoE5EiNS0_10empty_typeEbEEZZNS1_14partition_implILS5_5ELb0ES3_mN6thrust23THRUST_200600_302600_NS17counting_iteratorIiNSA_11use_defaultESC_SC_EEPS6_NSA_18transform_iteratorINSA_8identityIiEENSA_6detail15normal_iteratorINSA_10device_ptrIiEEEESC_SC_EENS0_5tupleIJSM_S6_EEENSO_IJSE_SE_EEES6_PlJS6_EEE10hipError_tPvRmT3_T4_T5_T6_T7_T9_mT8_P12ihipStream_tbDpT10_ENKUlT_T0_E_clISt17integral_constantIbLb1EES1A_IbLb0EEEEDaS16_S17_EUlS16_E_NS1_11comp_targetILNS1_3genE2ELNS1_11target_archE906ELNS1_3gpuE6ELNS1_3repE0EEENS1_30default_config_static_selectorELNS0_4arch9wavefront6targetE1EEEvT1_ ; -- Begin function _ZN7rocprim17ROCPRIM_400000_NS6detail17trampoline_kernelINS0_14default_configENS1_25partition_config_selectorILNS1_17partition_subalgoE5EiNS0_10empty_typeEbEEZZNS1_14partition_implILS5_5ELb0ES3_mN6thrust23THRUST_200600_302600_NS17counting_iteratorIiNSA_11use_defaultESC_SC_EEPS6_NSA_18transform_iteratorINSA_8identityIiEENSA_6detail15normal_iteratorINSA_10device_ptrIiEEEESC_SC_EENS0_5tupleIJSM_S6_EEENSO_IJSE_SE_EEES6_PlJS6_EEE10hipError_tPvRmT3_T4_T5_T6_T7_T9_mT8_P12ihipStream_tbDpT10_ENKUlT_T0_E_clISt17integral_constantIbLb1EES1A_IbLb0EEEEDaS16_S17_EUlS16_E_NS1_11comp_targetILNS1_3genE2ELNS1_11target_archE906ELNS1_3gpuE6ELNS1_3repE0EEENS1_30default_config_static_selectorELNS0_4arch9wavefront6targetE1EEEvT1_
	.globl	_ZN7rocprim17ROCPRIM_400000_NS6detail17trampoline_kernelINS0_14default_configENS1_25partition_config_selectorILNS1_17partition_subalgoE5EiNS0_10empty_typeEbEEZZNS1_14partition_implILS5_5ELb0ES3_mN6thrust23THRUST_200600_302600_NS17counting_iteratorIiNSA_11use_defaultESC_SC_EEPS6_NSA_18transform_iteratorINSA_8identityIiEENSA_6detail15normal_iteratorINSA_10device_ptrIiEEEESC_SC_EENS0_5tupleIJSM_S6_EEENSO_IJSE_SE_EEES6_PlJS6_EEE10hipError_tPvRmT3_T4_T5_T6_T7_T9_mT8_P12ihipStream_tbDpT10_ENKUlT_T0_E_clISt17integral_constantIbLb1EES1A_IbLb0EEEEDaS16_S17_EUlS16_E_NS1_11comp_targetILNS1_3genE2ELNS1_11target_archE906ELNS1_3gpuE6ELNS1_3repE0EEENS1_30default_config_static_selectorELNS0_4arch9wavefront6targetE1EEEvT1_
	.p2align	8
	.type	_ZN7rocprim17ROCPRIM_400000_NS6detail17trampoline_kernelINS0_14default_configENS1_25partition_config_selectorILNS1_17partition_subalgoE5EiNS0_10empty_typeEbEEZZNS1_14partition_implILS5_5ELb0ES3_mN6thrust23THRUST_200600_302600_NS17counting_iteratorIiNSA_11use_defaultESC_SC_EEPS6_NSA_18transform_iteratorINSA_8identityIiEENSA_6detail15normal_iteratorINSA_10device_ptrIiEEEESC_SC_EENS0_5tupleIJSM_S6_EEENSO_IJSE_SE_EEES6_PlJS6_EEE10hipError_tPvRmT3_T4_T5_T6_T7_T9_mT8_P12ihipStream_tbDpT10_ENKUlT_T0_E_clISt17integral_constantIbLb1EES1A_IbLb0EEEEDaS16_S17_EUlS16_E_NS1_11comp_targetILNS1_3genE2ELNS1_11target_archE906ELNS1_3gpuE6ELNS1_3repE0EEENS1_30default_config_static_selectorELNS0_4arch9wavefront6targetE1EEEvT1_,@function
_ZN7rocprim17ROCPRIM_400000_NS6detail17trampoline_kernelINS0_14default_configENS1_25partition_config_selectorILNS1_17partition_subalgoE5EiNS0_10empty_typeEbEEZZNS1_14partition_implILS5_5ELb0ES3_mN6thrust23THRUST_200600_302600_NS17counting_iteratorIiNSA_11use_defaultESC_SC_EEPS6_NSA_18transform_iteratorINSA_8identityIiEENSA_6detail15normal_iteratorINSA_10device_ptrIiEEEESC_SC_EENS0_5tupleIJSM_S6_EEENSO_IJSE_SE_EEES6_PlJS6_EEE10hipError_tPvRmT3_T4_T5_T6_T7_T9_mT8_P12ihipStream_tbDpT10_ENKUlT_T0_E_clISt17integral_constantIbLb1EES1A_IbLb0EEEEDaS16_S17_EUlS16_E_NS1_11comp_targetILNS1_3genE2ELNS1_11target_archE906ELNS1_3gpuE6ELNS1_3repE0EEENS1_30default_config_static_selectorELNS0_4arch9wavefront6targetE1EEEvT1_: ; @_ZN7rocprim17ROCPRIM_400000_NS6detail17trampoline_kernelINS0_14default_configENS1_25partition_config_selectorILNS1_17partition_subalgoE5EiNS0_10empty_typeEbEEZZNS1_14partition_implILS5_5ELb0ES3_mN6thrust23THRUST_200600_302600_NS17counting_iteratorIiNSA_11use_defaultESC_SC_EEPS6_NSA_18transform_iteratorINSA_8identityIiEENSA_6detail15normal_iteratorINSA_10device_ptrIiEEEESC_SC_EENS0_5tupleIJSM_S6_EEENSO_IJSE_SE_EEES6_PlJS6_EEE10hipError_tPvRmT3_T4_T5_T6_T7_T9_mT8_P12ihipStream_tbDpT10_ENKUlT_T0_E_clISt17integral_constantIbLb1EES1A_IbLb0EEEEDaS16_S17_EUlS16_E_NS1_11comp_targetILNS1_3genE2ELNS1_11target_archE906ELNS1_3gpuE6ELNS1_3repE0EEENS1_30default_config_static_selectorELNS0_4arch9wavefront6targetE1EEEvT1_
; %bb.0:
	.section	.rodata,"a",@progbits
	.p2align	6, 0x0
	.amdhsa_kernel _ZN7rocprim17ROCPRIM_400000_NS6detail17trampoline_kernelINS0_14default_configENS1_25partition_config_selectorILNS1_17partition_subalgoE5EiNS0_10empty_typeEbEEZZNS1_14partition_implILS5_5ELb0ES3_mN6thrust23THRUST_200600_302600_NS17counting_iteratorIiNSA_11use_defaultESC_SC_EEPS6_NSA_18transform_iteratorINSA_8identityIiEENSA_6detail15normal_iteratorINSA_10device_ptrIiEEEESC_SC_EENS0_5tupleIJSM_S6_EEENSO_IJSE_SE_EEES6_PlJS6_EEE10hipError_tPvRmT3_T4_T5_T6_T7_T9_mT8_P12ihipStream_tbDpT10_ENKUlT_T0_E_clISt17integral_constantIbLb1EES1A_IbLb0EEEEDaS16_S17_EUlS16_E_NS1_11comp_targetILNS1_3genE2ELNS1_11target_archE906ELNS1_3gpuE6ELNS1_3repE0EEENS1_30default_config_static_selectorELNS0_4arch9wavefront6targetE1EEEvT1_
		.amdhsa_group_segment_fixed_size 0
		.amdhsa_private_segment_fixed_size 0
		.amdhsa_kernarg_size 120
		.amdhsa_user_sgpr_count 6
		.amdhsa_user_sgpr_private_segment_buffer 1
		.amdhsa_user_sgpr_dispatch_ptr 0
		.amdhsa_user_sgpr_queue_ptr 0
		.amdhsa_user_sgpr_kernarg_segment_ptr 1
		.amdhsa_user_sgpr_dispatch_id 0
		.amdhsa_user_sgpr_flat_scratch_init 0
		.amdhsa_user_sgpr_kernarg_preload_length 0
		.amdhsa_user_sgpr_kernarg_preload_offset 0
		.amdhsa_user_sgpr_private_segment_size 0
		.amdhsa_uses_dynamic_stack 0
		.amdhsa_system_sgpr_private_segment_wavefront_offset 0
		.amdhsa_system_sgpr_workgroup_id_x 1
		.amdhsa_system_sgpr_workgroup_id_y 0
		.amdhsa_system_sgpr_workgroup_id_z 0
		.amdhsa_system_sgpr_workgroup_info 0
		.amdhsa_system_vgpr_workitem_id 0
		.amdhsa_next_free_vgpr 1
		.amdhsa_next_free_sgpr 0
		.amdhsa_accum_offset 4
		.amdhsa_reserve_vcc 0
		.amdhsa_reserve_flat_scratch 0
		.amdhsa_float_round_mode_32 0
		.amdhsa_float_round_mode_16_64 0
		.amdhsa_float_denorm_mode_32 3
		.amdhsa_float_denorm_mode_16_64 3
		.amdhsa_dx10_clamp 1
		.amdhsa_ieee_mode 1
		.amdhsa_fp16_overflow 0
		.amdhsa_tg_split 0
		.amdhsa_exception_fp_ieee_invalid_op 0
		.amdhsa_exception_fp_denorm_src 0
		.amdhsa_exception_fp_ieee_div_zero 0
		.amdhsa_exception_fp_ieee_overflow 0
		.amdhsa_exception_fp_ieee_underflow 0
		.amdhsa_exception_fp_ieee_inexact 0
		.amdhsa_exception_int_div_zero 0
	.end_amdhsa_kernel
	.section	.text._ZN7rocprim17ROCPRIM_400000_NS6detail17trampoline_kernelINS0_14default_configENS1_25partition_config_selectorILNS1_17partition_subalgoE5EiNS0_10empty_typeEbEEZZNS1_14partition_implILS5_5ELb0ES3_mN6thrust23THRUST_200600_302600_NS17counting_iteratorIiNSA_11use_defaultESC_SC_EEPS6_NSA_18transform_iteratorINSA_8identityIiEENSA_6detail15normal_iteratorINSA_10device_ptrIiEEEESC_SC_EENS0_5tupleIJSM_S6_EEENSO_IJSE_SE_EEES6_PlJS6_EEE10hipError_tPvRmT3_T4_T5_T6_T7_T9_mT8_P12ihipStream_tbDpT10_ENKUlT_T0_E_clISt17integral_constantIbLb1EES1A_IbLb0EEEEDaS16_S17_EUlS16_E_NS1_11comp_targetILNS1_3genE2ELNS1_11target_archE906ELNS1_3gpuE6ELNS1_3repE0EEENS1_30default_config_static_selectorELNS0_4arch9wavefront6targetE1EEEvT1_,"axG",@progbits,_ZN7rocprim17ROCPRIM_400000_NS6detail17trampoline_kernelINS0_14default_configENS1_25partition_config_selectorILNS1_17partition_subalgoE5EiNS0_10empty_typeEbEEZZNS1_14partition_implILS5_5ELb0ES3_mN6thrust23THRUST_200600_302600_NS17counting_iteratorIiNSA_11use_defaultESC_SC_EEPS6_NSA_18transform_iteratorINSA_8identityIiEENSA_6detail15normal_iteratorINSA_10device_ptrIiEEEESC_SC_EENS0_5tupleIJSM_S6_EEENSO_IJSE_SE_EEES6_PlJS6_EEE10hipError_tPvRmT3_T4_T5_T6_T7_T9_mT8_P12ihipStream_tbDpT10_ENKUlT_T0_E_clISt17integral_constantIbLb1EES1A_IbLb0EEEEDaS16_S17_EUlS16_E_NS1_11comp_targetILNS1_3genE2ELNS1_11target_archE906ELNS1_3gpuE6ELNS1_3repE0EEENS1_30default_config_static_selectorELNS0_4arch9wavefront6targetE1EEEvT1_,comdat
.Lfunc_end32:
	.size	_ZN7rocprim17ROCPRIM_400000_NS6detail17trampoline_kernelINS0_14default_configENS1_25partition_config_selectorILNS1_17partition_subalgoE5EiNS0_10empty_typeEbEEZZNS1_14partition_implILS5_5ELb0ES3_mN6thrust23THRUST_200600_302600_NS17counting_iteratorIiNSA_11use_defaultESC_SC_EEPS6_NSA_18transform_iteratorINSA_8identityIiEENSA_6detail15normal_iteratorINSA_10device_ptrIiEEEESC_SC_EENS0_5tupleIJSM_S6_EEENSO_IJSE_SE_EEES6_PlJS6_EEE10hipError_tPvRmT3_T4_T5_T6_T7_T9_mT8_P12ihipStream_tbDpT10_ENKUlT_T0_E_clISt17integral_constantIbLb1EES1A_IbLb0EEEEDaS16_S17_EUlS16_E_NS1_11comp_targetILNS1_3genE2ELNS1_11target_archE906ELNS1_3gpuE6ELNS1_3repE0EEENS1_30default_config_static_selectorELNS0_4arch9wavefront6targetE1EEEvT1_, .Lfunc_end32-_ZN7rocprim17ROCPRIM_400000_NS6detail17trampoline_kernelINS0_14default_configENS1_25partition_config_selectorILNS1_17partition_subalgoE5EiNS0_10empty_typeEbEEZZNS1_14partition_implILS5_5ELb0ES3_mN6thrust23THRUST_200600_302600_NS17counting_iteratorIiNSA_11use_defaultESC_SC_EEPS6_NSA_18transform_iteratorINSA_8identityIiEENSA_6detail15normal_iteratorINSA_10device_ptrIiEEEESC_SC_EENS0_5tupleIJSM_S6_EEENSO_IJSE_SE_EEES6_PlJS6_EEE10hipError_tPvRmT3_T4_T5_T6_T7_T9_mT8_P12ihipStream_tbDpT10_ENKUlT_T0_E_clISt17integral_constantIbLb1EES1A_IbLb0EEEEDaS16_S17_EUlS16_E_NS1_11comp_targetILNS1_3genE2ELNS1_11target_archE906ELNS1_3gpuE6ELNS1_3repE0EEENS1_30default_config_static_selectorELNS0_4arch9wavefront6targetE1EEEvT1_
                                        ; -- End function
	.section	.AMDGPU.csdata,"",@progbits
; Kernel info:
; codeLenInByte = 0
; NumSgprs: 4
; NumVgprs: 0
; NumAgprs: 0
; TotalNumVgprs: 0
; ScratchSize: 0
; MemoryBound: 0
; FloatMode: 240
; IeeeMode: 1
; LDSByteSize: 0 bytes/workgroup (compile time only)
; SGPRBlocks: 0
; VGPRBlocks: 0
; NumSGPRsForWavesPerEU: 4
; NumVGPRsForWavesPerEU: 1
; AccumOffset: 4
; Occupancy: 8
; WaveLimiterHint : 0
; COMPUTE_PGM_RSRC2:SCRATCH_EN: 0
; COMPUTE_PGM_RSRC2:USER_SGPR: 6
; COMPUTE_PGM_RSRC2:TRAP_HANDLER: 0
; COMPUTE_PGM_RSRC2:TGID_X_EN: 1
; COMPUTE_PGM_RSRC2:TGID_Y_EN: 0
; COMPUTE_PGM_RSRC2:TGID_Z_EN: 0
; COMPUTE_PGM_RSRC2:TIDIG_COMP_CNT: 0
; COMPUTE_PGM_RSRC3_GFX90A:ACCUM_OFFSET: 0
; COMPUTE_PGM_RSRC3_GFX90A:TG_SPLIT: 0
	.section	.text._ZN7rocprim17ROCPRIM_400000_NS6detail17trampoline_kernelINS0_14default_configENS1_25partition_config_selectorILNS1_17partition_subalgoE5EiNS0_10empty_typeEbEEZZNS1_14partition_implILS5_5ELb0ES3_mN6thrust23THRUST_200600_302600_NS17counting_iteratorIiNSA_11use_defaultESC_SC_EEPS6_NSA_18transform_iteratorINSA_8identityIiEENSA_6detail15normal_iteratorINSA_10device_ptrIiEEEESC_SC_EENS0_5tupleIJSM_S6_EEENSO_IJSE_SE_EEES6_PlJS6_EEE10hipError_tPvRmT3_T4_T5_T6_T7_T9_mT8_P12ihipStream_tbDpT10_ENKUlT_T0_E_clISt17integral_constantIbLb1EES1A_IbLb0EEEEDaS16_S17_EUlS16_E_NS1_11comp_targetILNS1_3genE10ELNS1_11target_archE1200ELNS1_3gpuE4ELNS1_3repE0EEENS1_30default_config_static_selectorELNS0_4arch9wavefront6targetE1EEEvT1_,"axG",@progbits,_ZN7rocprim17ROCPRIM_400000_NS6detail17trampoline_kernelINS0_14default_configENS1_25partition_config_selectorILNS1_17partition_subalgoE5EiNS0_10empty_typeEbEEZZNS1_14partition_implILS5_5ELb0ES3_mN6thrust23THRUST_200600_302600_NS17counting_iteratorIiNSA_11use_defaultESC_SC_EEPS6_NSA_18transform_iteratorINSA_8identityIiEENSA_6detail15normal_iteratorINSA_10device_ptrIiEEEESC_SC_EENS0_5tupleIJSM_S6_EEENSO_IJSE_SE_EEES6_PlJS6_EEE10hipError_tPvRmT3_T4_T5_T6_T7_T9_mT8_P12ihipStream_tbDpT10_ENKUlT_T0_E_clISt17integral_constantIbLb1EES1A_IbLb0EEEEDaS16_S17_EUlS16_E_NS1_11comp_targetILNS1_3genE10ELNS1_11target_archE1200ELNS1_3gpuE4ELNS1_3repE0EEENS1_30default_config_static_selectorELNS0_4arch9wavefront6targetE1EEEvT1_,comdat
	.protected	_ZN7rocprim17ROCPRIM_400000_NS6detail17trampoline_kernelINS0_14default_configENS1_25partition_config_selectorILNS1_17partition_subalgoE5EiNS0_10empty_typeEbEEZZNS1_14partition_implILS5_5ELb0ES3_mN6thrust23THRUST_200600_302600_NS17counting_iteratorIiNSA_11use_defaultESC_SC_EEPS6_NSA_18transform_iteratorINSA_8identityIiEENSA_6detail15normal_iteratorINSA_10device_ptrIiEEEESC_SC_EENS0_5tupleIJSM_S6_EEENSO_IJSE_SE_EEES6_PlJS6_EEE10hipError_tPvRmT3_T4_T5_T6_T7_T9_mT8_P12ihipStream_tbDpT10_ENKUlT_T0_E_clISt17integral_constantIbLb1EES1A_IbLb0EEEEDaS16_S17_EUlS16_E_NS1_11comp_targetILNS1_3genE10ELNS1_11target_archE1200ELNS1_3gpuE4ELNS1_3repE0EEENS1_30default_config_static_selectorELNS0_4arch9wavefront6targetE1EEEvT1_ ; -- Begin function _ZN7rocprim17ROCPRIM_400000_NS6detail17trampoline_kernelINS0_14default_configENS1_25partition_config_selectorILNS1_17partition_subalgoE5EiNS0_10empty_typeEbEEZZNS1_14partition_implILS5_5ELb0ES3_mN6thrust23THRUST_200600_302600_NS17counting_iteratorIiNSA_11use_defaultESC_SC_EEPS6_NSA_18transform_iteratorINSA_8identityIiEENSA_6detail15normal_iteratorINSA_10device_ptrIiEEEESC_SC_EENS0_5tupleIJSM_S6_EEENSO_IJSE_SE_EEES6_PlJS6_EEE10hipError_tPvRmT3_T4_T5_T6_T7_T9_mT8_P12ihipStream_tbDpT10_ENKUlT_T0_E_clISt17integral_constantIbLb1EES1A_IbLb0EEEEDaS16_S17_EUlS16_E_NS1_11comp_targetILNS1_3genE10ELNS1_11target_archE1200ELNS1_3gpuE4ELNS1_3repE0EEENS1_30default_config_static_selectorELNS0_4arch9wavefront6targetE1EEEvT1_
	.globl	_ZN7rocprim17ROCPRIM_400000_NS6detail17trampoline_kernelINS0_14default_configENS1_25partition_config_selectorILNS1_17partition_subalgoE5EiNS0_10empty_typeEbEEZZNS1_14partition_implILS5_5ELb0ES3_mN6thrust23THRUST_200600_302600_NS17counting_iteratorIiNSA_11use_defaultESC_SC_EEPS6_NSA_18transform_iteratorINSA_8identityIiEENSA_6detail15normal_iteratorINSA_10device_ptrIiEEEESC_SC_EENS0_5tupleIJSM_S6_EEENSO_IJSE_SE_EEES6_PlJS6_EEE10hipError_tPvRmT3_T4_T5_T6_T7_T9_mT8_P12ihipStream_tbDpT10_ENKUlT_T0_E_clISt17integral_constantIbLb1EES1A_IbLb0EEEEDaS16_S17_EUlS16_E_NS1_11comp_targetILNS1_3genE10ELNS1_11target_archE1200ELNS1_3gpuE4ELNS1_3repE0EEENS1_30default_config_static_selectorELNS0_4arch9wavefront6targetE1EEEvT1_
	.p2align	8
	.type	_ZN7rocprim17ROCPRIM_400000_NS6detail17trampoline_kernelINS0_14default_configENS1_25partition_config_selectorILNS1_17partition_subalgoE5EiNS0_10empty_typeEbEEZZNS1_14partition_implILS5_5ELb0ES3_mN6thrust23THRUST_200600_302600_NS17counting_iteratorIiNSA_11use_defaultESC_SC_EEPS6_NSA_18transform_iteratorINSA_8identityIiEENSA_6detail15normal_iteratorINSA_10device_ptrIiEEEESC_SC_EENS0_5tupleIJSM_S6_EEENSO_IJSE_SE_EEES6_PlJS6_EEE10hipError_tPvRmT3_T4_T5_T6_T7_T9_mT8_P12ihipStream_tbDpT10_ENKUlT_T0_E_clISt17integral_constantIbLb1EES1A_IbLb0EEEEDaS16_S17_EUlS16_E_NS1_11comp_targetILNS1_3genE10ELNS1_11target_archE1200ELNS1_3gpuE4ELNS1_3repE0EEENS1_30default_config_static_selectorELNS0_4arch9wavefront6targetE1EEEvT1_,@function
_ZN7rocprim17ROCPRIM_400000_NS6detail17trampoline_kernelINS0_14default_configENS1_25partition_config_selectorILNS1_17partition_subalgoE5EiNS0_10empty_typeEbEEZZNS1_14partition_implILS5_5ELb0ES3_mN6thrust23THRUST_200600_302600_NS17counting_iteratorIiNSA_11use_defaultESC_SC_EEPS6_NSA_18transform_iteratorINSA_8identityIiEENSA_6detail15normal_iteratorINSA_10device_ptrIiEEEESC_SC_EENS0_5tupleIJSM_S6_EEENSO_IJSE_SE_EEES6_PlJS6_EEE10hipError_tPvRmT3_T4_T5_T6_T7_T9_mT8_P12ihipStream_tbDpT10_ENKUlT_T0_E_clISt17integral_constantIbLb1EES1A_IbLb0EEEEDaS16_S17_EUlS16_E_NS1_11comp_targetILNS1_3genE10ELNS1_11target_archE1200ELNS1_3gpuE4ELNS1_3repE0EEENS1_30default_config_static_selectorELNS0_4arch9wavefront6targetE1EEEvT1_: ; @_ZN7rocprim17ROCPRIM_400000_NS6detail17trampoline_kernelINS0_14default_configENS1_25partition_config_selectorILNS1_17partition_subalgoE5EiNS0_10empty_typeEbEEZZNS1_14partition_implILS5_5ELb0ES3_mN6thrust23THRUST_200600_302600_NS17counting_iteratorIiNSA_11use_defaultESC_SC_EEPS6_NSA_18transform_iteratorINSA_8identityIiEENSA_6detail15normal_iteratorINSA_10device_ptrIiEEEESC_SC_EENS0_5tupleIJSM_S6_EEENSO_IJSE_SE_EEES6_PlJS6_EEE10hipError_tPvRmT3_T4_T5_T6_T7_T9_mT8_P12ihipStream_tbDpT10_ENKUlT_T0_E_clISt17integral_constantIbLb1EES1A_IbLb0EEEEDaS16_S17_EUlS16_E_NS1_11comp_targetILNS1_3genE10ELNS1_11target_archE1200ELNS1_3gpuE4ELNS1_3repE0EEENS1_30default_config_static_selectorELNS0_4arch9wavefront6targetE1EEEvT1_
; %bb.0:
	.section	.rodata,"a",@progbits
	.p2align	6, 0x0
	.amdhsa_kernel _ZN7rocprim17ROCPRIM_400000_NS6detail17trampoline_kernelINS0_14default_configENS1_25partition_config_selectorILNS1_17partition_subalgoE5EiNS0_10empty_typeEbEEZZNS1_14partition_implILS5_5ELb0ES3_mN6thrust23THRUST_200600_302600_NS17counting_iteratorIiNSA_11use_defaultESC_SC_EEPS6_NSA_18transform_iteratorINSA_8identityIiEENSA_6detail15normal_iteratorINSA_10device_ptrIiEEEESC_SC_EENS0_5tupleIJSM_S6_EEENSO_IJSE_SE_EEES6_PlJS6_EEE10hipError_tPvRmT3_T4_T5_T6_T7_T9_mT8_P12ihipStream_tbDpT10_ENKUlT_T0_E_clISt17integral_constantIbLb1EES1A_IbLb0EEEEDaS16_S17_EUlS16_E_NS1_11comp_targetILNS1_3genE10ELNS1_11target_archE1200ELNS1_3gpuE4ELNS1_3repE0EEENS1_30default_config_static_selectorELNS0_4arch9wavefront6targetE1EEEvT1_
		.amdhsa_group_segment_fixed_size 0
		.amdhsa_private_segment_fixed_size 0
		.amdhsa_kernarg_size 120
		.amdhsa_user_sgpr_count 6
		.amdhsa_user_sgpr_private_segment_buffer 1
		.amdhsa_user_sgpr_dispatch_ptr 0
		.amdhsa_user_sgpr_queue_ptr 0
		.amdhsa_user_sgpr_kernarg_segment_ptr 1
		.amdhsa_user_sgpr_dispatch_id 0
		.amdhsa_user_sgpr_flat_scratch_init 0
		.amdhsa_user_sgpr_kernarg_preload_length 0
		.amdhsa_user_sgpr_kernarg_preload_offset 0
		.amdhsa_user_sgpr_private_segment_size 0
		.amdhsa_uses_dynamic_stack 0
		.amdhsa_system_sgpr_private_segment_wavefront_offset 0
		.amdhsa_system_sgpr_workgroup_id_x 1
		.amdhsa_system_sgpr_workgroup_id_y 0
		.amdhsa_system_sgpr_workgroup_id_z 0
		.amdhsa_system_sgpr_workgroup_info 0
		.amdhsa_system_vgpr_workitem_id 0
		.amdhsa_next_free_vgpr 1
		.amdhsa_next_free_sgpr 0
		.amdhsa_accum_offset 4
		.amdhsa_reserve_vcc 0
		.amdhsa_reserve_flat_scratch 0
		.amdhsa_float_round_mode_32 0
		.amdhsa_float_round_mode_16_64 0
		.amdhsa_float_denorm_mode_32 3
		.amdhsa_float_denorm_mode_16_64 3
		.amdhsa_dx10_clamp 1
		.amdhsa_ieee_mode 1
		.amdhsa_fp16_overflow 0
		.amdhsa_tg_split 0
		.amdhsa_exception_fp_ieee_invalid_op 0
		.amdhsa_exception_fp_denorm_src 0
		.amdhsa_exception_fp_ieee_div_zero 0
		.amdhsa_exception_fp_ieee_overflow 0
		.amdhsa_exception_fp_ieee_underflow 0
		.amdhsa_exception_fp_ieee_inexact 0
		.amdhsa_exception_int_div_zero 0
	.end_amdhsa_kernel
	.section	.text._ZN7rocprim17ROCPRIM_400000_NS6detail17trampoline_kernelINS0_14default_configENS1_25partition_config_selectorILNS1_17partition_subalgoE5EiNS0_10empty_typeEbEEZZNS1_14partition_implILS5_5ELb0ES3_mN6thrust23THRUST_200600_302600_NS17counting_iteratorIiNSA_11use_defaultESC_SC_EEPS6_NSA_18transform_iteratorINSA_8identityIiEENSA_6detail15normal_iteratorINSA_10device_ptrIiEEEESC_SC_EENS0_5tupleIJSM_S6_EEENSO_IJSE_SE_EEES6_PlJS6_EEE10hipError_tPvRmT3_T4_T5_T6_T7_T9_mT8_P12ihipStream_tbDpT10_ENKUlT_T0_E_clISt17integral_constantIbLb1EES1A_IbLb0EEEEDaS16_S17_EUlS16_E_NS1_11comp_targetILNS1_3genE10ELNS1_11target_archE1200ELNS1_3gpuE4ELNS1_3repE0EEENS1_30default_config_static_selectorELNS0_4arch9wavefront6targetE1EEEvT1_,"axG",@progbits,_ZN7rocprim17ROCPRIM_400000_NS6detail17trampoline_kernelINS0_14default_configENS1_25partition_config_selectorILNS1_17partition_subalgoE5EiNS0_10empty_typeEbEEZZNS1_14partition_implILS5_5ELb0ES3_mN6thrust23THRUST_200600_302600_NS17counting_iteratorIiNSA_11use_defaultESC_SC_EEPS6_NSA_18transform_iteratorINSA_8identityIiEENSA_6detail15normal_iteratorINSA_10device_ptrIiEEEESC_SC_EENS0_5tupleIJSM_S6_EEENSO_IJSE_SE_EEES6_PlJS6_EEE10hipError_tPvRmT3_T4_T5_T6_T7_T9_mT8_P12ihipStream_tbDpT10_ENKUlT_T0_E_clISt17integral_constantIbLb1EES1A_IbLb0EEEEDaS16_S17_EUlS16_E_NS1_11comp_targetILNS1_3genE10ELNS1_11target_archE1200ELNS1_3gpuE4ELNS1_3repE0EEENS1_30default_config_static_selectorELNS0_4arch9wavefront6targetE1EEEvT1_,comdat
.Lfunc_end33:
	.size	_ZN7rocprim17ROCPRIM_400000_NS6detail17trampoline_kernelINS0_14default_configENS1_25partition_config_selectorILNS1_17partition_subalgoE5EiNS0_10empty_typeEbEEZZNS1_14partition_implILS5_5ELb0ES3_mN6thrust23THRUST_200600_302600_NS17counting_iteratorIiNSA_11use_defaultESC_SC_EEPS6_NSA_18transform_iteratorINSA_8identityIiEENSA_6detail15normal_iteratorINSA_10device_ptrIiEEEESC_SC_EENS0_5tupleIJSM_S6_EEENSO_IJSE_SE_EEES6_PlJS6_EEE10hipError_tPvRmT3_T4_T5_T6_T7_T9_mT8_P12ihipStream_tbDpT10_ENKUlT_T0_E_clISt17integral_constantIbLb1EES1A_IbLb0EEEEDaS16_S17_EUlS16_E_NS1_11comp_targetILNS1_3genE10ELNS1_11target_archE1200ELNS1_3gpuE4ELNS1_3repE0EEENS1_30default_config_static_selectorELNS0_4arch9wavefront6targetE1EEEvT1_, .Lfunc_end33-_ZN7rocprim17ROCPRIM_400000_NS6detail17trampoline_kernelINS0_14default_configENS1_25partition_config_selectorILNS1_17partition_subalgoE5EiNS0_10empty_typeEbEEZZNS1_14partition_implILS5_5ELb0ES3_mN6thrust23THRUST_200600_302600_NS17counting_iteratorIiNSA_11use_defaultESC_SC_EEPS6_NSA_18transform_iteratorINSA_8identityIiEENSA_6detail15normal_iteratorINSA_10device_ptrIiEEEESC_SC_EENS0_5tupleIJSM_S6_EEENSO_IJSE_SE_EEES6_PlJS6_EEE10hipError_tPvRmT3_T4_T5_T6_T7_T9_mT8_P12ihipStream_tbDpT10_ENKUlT_T0_E_clISt17integral_constantIbLb1EES1A_IbLb0EEEEDaS16_S17_EUlS16_E_NS1_11comp_targetILNS1_3genE10ELNS1_11target_archE1200ELNS1_3gpuE4ELNS1_3repE0EEENS1_30default_config_static_selectorELNS0_4arch9wavefront6targetE1EEEvT1_
                                        ; -- End function
	.section	.AMDGPU.csdata,"",@progbits
; Kernel info:
; codeLenInByte = 0
; NumSgprs: 4
; NumVgprs: 0
; NumAgprs: 0
; TotalNumVgprs: 0
; ScratchSize: 0
; MemoryBound: 0
; FloatMode: 240
; IeeeMode: 1
; LDSByteSize: 0 bytes/workgroup (compile time only)
; SGPRBlocks: 0
; VGPRBlocks: 0
; NumSGPRsForWavesPerEU: 4
; NumVGPRsForWavesPerEU: 1
; AccumOffset: 4
; Occupancy: 8
; WaveLimiterHint : 0
; COMPUTE_PGM_RSRC2:SCRATCH_EN: 0
; COMPUTE_PGM_RSRC2:USER_SGPR: 6
; COMPUTE_PGM_RSRC2:TRAP_HANDLER: 0
; COMPUTE_PGM_RSRC2:TGID_X_EN: 1
; COMPUTE_PGM_RSRC2:TGID_Y_EN: 0
; COMPUTE_PGM_RSRC2:TGID_Z_EN: 0
; COMPUTE_PGM_RSRC2:TIDIG_COMP_CNT: 0
; COMPUTE_PGM_RSRC3_GFX90A:ACCUM_OFFSET: 0
; COMPUTE_PGM_RSRC3_GFX90A:TG_SPLIT: 0
	.section	.text._ZN7rocprim17ROCPRIM_400000_NS6detail17trampoline_kernelINS0_14default_configENS1_25partition_config_selectorILNS1_17partition_subalgoE5EiNS0_10empty_typeEbEEZZNS1_14partition_implILS5_5ELb0ES3_mN6thrust23THRUST_200600_302600_NS17counting_iteratorIiNSA_11use_defaultESC_SC_EEPS6_NSA_18transform_iteratorINSA_8identityIiEENSA_6detail15normal_iteratorINSA_10device_ptrIiEEEESC_SC_EENS0_5tupleIJSM_S6_EEENSO_IJSE_SE_EEES6_PlJS6_EEE10hipError_tPvRmT3_T4_T5_T6_T7_T9_mT8_P12ihipStream_tbDpT10_ENKUlT_T0_E_clISt17integral_constantIbLb1EES1A_IbLb0EEEEDaS16_S17_EUlS16_E_NS1_11comp_targetILNS1_3genE9ELNS1_11target_archE1100ELNS1_3gpuE3ELNS1_3repE0EEENS1_30default_config_static_selectorELNS0_4arch9wavefront6targetE1EEEvT1_,"axG",@progbits,_ZN7rocprim17ROCPRIM_400000_NS6detail17trampoline_kernelINS0_14default_configENS1_25partition_config_selectorILNS1_17partition_subalgoE5EiNS0_10empty_typeEbEEZZNS1_14partition_implILS5_5ELb0ES3_mN6thrust23THRUST_200600_302600_NS17counting_iteratorIiNSA_11use_defaultESC_SC_EEPS6_NSA_18transform_iteratorINSA_8identityIiEENSA_6detail15normal_iteratorINSA_10device_ptrIiEEEESC_SC_EENS0_5tupleIJSM_S6_EEENSO_IJSE_SE_EEES6_PlJS6_EEE10hipError_tPvRmT3_T4_T5_T6_T7_T9_mT8_P12ihipStream_tbDpT10_ENKUlT_T0_E_clISt17integral_constantIbLb1EES1A_IbLb0EEEEDaS16_S17_EUlS16_E_NS1_11comp_targetILNS1_3genE9ELNS1_11target_archE1100ELNS1_3gpuE3ELNS1_3repE0EEENS1_30default_config_static_selectorELNS0_4arch9wavefront6targetE1EEEvT1_,comdat
	.protected	_ZN7rocprim17ROCPRIM_400000_NS6detail17trampoline_kernelINS0_14default_configENS1_25partition_config_selectorILNS1_17partition_subalgoE5EiNS0_10empty_typeEbEEZZNS1_14partition_implILS5_5ELb0ES3_mN6thrust23THRUST_200600_302600_NS17counting_iteratorIiNSA_11use_defaultESC_SC_EEPS6_NSA_18transform_iteratorINSA_8identityIiEENSA_6detail15normal_iteratorINSA_10device_ptrIiEEEESC_SC_EENS0_5tupleIJSM_S6_EEENSO_IJSE_SE_EEES6_PlJS6_EEE10hipError_tPvRmT3_T4_T5_T6_T7_T9_mT8_P12ihipStream_tbDpT10_ENKUlT_T0_E_clISt17integral_constantIbLb1EES1A_IbLb0EEEEDaS16_S17_EUlS16_E_NS1_11comp_targetILNS1_3genE9ELNS1_11target_archE1100ELNS1_3gpuE3ELNS1_3repE0EEENS1_30default_config_static_selectorELNS0_4arch9wavefront6targetE1EEEvT1_ ; -- Begin function _ZN7rocprim17ROCPRIM_400000_NS6detail17trampoline_kernelINS0_14default_configENS1_25partition_config_selectorILNS1_17partition_subalgoE5EiNS0_10empty_typeEbEEZZNS1_14partition_implILS5_5ELb0ES3_mN6thrust23THRUST_200600_302600_NS17counting_iteratorIiNSA_11use_defaultESC_SC_EEPS6_NSA_18transform_iteratorINSA_8identityIiEENSA_6detail15normal_iteratorINSA_10device_ptrIiEEEESC_SC_EENS0_5tupleIJSM_S6_EEENSO_IJSE_SE_EEES6_PlJS6_EEE10hipError_tPvRmT3_T4_T5_T6_T7_T9_mT8_P12ihipStream_tbDpT10_ENKUlT_T0_E_clISt17integral_constantIbLb1EES1A_IbLb0EEEEDaS16_S17_EUlS16_E_NS1_11comp_targetILNS1_3genE9ELNS1_11target_archE1100ELNS1_3gpuE3ELNS1_3repE0EEENS1_30default_config_static_selectorELNS0_4arch9wavefront6targetE1EEEvT1_
	.globl	_ZN7rocprim17ROCPRIM_400000_NS6detail17trampoline_kernelINS0_14default_configENS1_25partition_config_selectorILNS1_17partition_subalgoE5EiNS0_10empty_typeEbEEZZNS1_14partition_implILS5_5ELb0ES3_mN6thrust23THRUST_200600_302600_NS17counting_iteratorIiNSA_11use_defaultESC_SC_EEPS6_NSA_18transform_iteratorINSA_8identityIiEENSA_6detail15normal_iteratorINSA_10device_ptrIiEEEESC_SC_EENS0_5tupleIJSM_S6_EEENSO_IJSE_SE_EEES6_PlJS6_EEE10hipError_tPvRmT3_T4_T5_T6_T7_T9_mT8_P12ihipStream_tbDpT10_ENKUlT_T0_E_clISt17integral_constantIbLb1EES1A_IbLb0EEEEDaS16_S17_EUlS16_E_NS1_11comp_targetILNS1_3genE9ELNS1_11target_archE1100ELNS1_3gpuE3ELNS1_3repE0EEENS1_30default_config_static_selectorELNS0_4arch9wavefront6targetE1EEEvT1_
	.p2align	8
	.type	_ZN7rocprim17ROCPRIM_400000_NS6detail17trampoline_kernelINS0_14default_configENS1_25partition_config_selectorILNS1_17partition_subalgoE5EiNS0_10empty_typeEbEEZZNS1_14partition_implILS5_5ELb0ES3_mN6thrust23THRUST_200600_302600_NS17counting_iteratorIiNSA_11use_defaultESC_SC_EEPS6_NSA_18transform_iteratorINSA_8identityIiEENSA_6detail15normal_iteratorINSA_10device_ptrIiEEEESC_SC_EENS0_5tupleIJSM_S6_EEENSO_IJSE_SE_EEES6_PlJS6_EEE10hipError_tPvRmT3_T4_T5_T6_T7_T9_mT8_P12ihipStream_tbDpT10_ENKUlT_T0_E_clISt17integral_constantIbLb1EES1A_IbLb0EEEEDaS16_S17_EUlS16_E_NS1_11comp_targetILNS1_3genE9ELNS1_11target_archE1100ELNS1_3gpuE3ELNS1_3repE0EEENS1_30default_config_static_selectorELNS0_4arch9wavefront6targetE1EEEvT1_,@function
_ZN7rocprim17ROCPRIM_400000_NS6detail17trampoline_kernelINS0_14default_configENS1_25partition_config_selectorILNS1_17partition_subalgoE5EiNS0_10empty_typeEbEEZZNS1_14partition_implILS5_5ELb0ES3_mN6thrust23THRUST_200600_302600_NS17counting_iteratorIiNSA_11use_defaultESC_SC_EEPS6_NSA_18transform_iteratorINSA_8identityIiEENSA_6detail15normal_iteratorINSA_10device_ptrIiEEEESC_SC_EENS0_5tupleIJSM_S6_EEENSO_IJSE_SE_EEES6_PlJS6_EEE10hipError_tPvRmT3_T4_T5_T6_T7_T9_mT8_P12ihipStream_tbDpT10_ENKUlT_T0_E_clISt17integral_constantIbLb1EES1A_IbLb0EEEEDaS16_S17_EUlS16_E_NS1_11comp_targetILNS1_3genE9ELNS1_11target_archE1100ELNS1_3gpuE3ELNS1_3repE0EEENS1_30default_config_static_selectorELNS0_4arch9wavefront6targetE1EEEvT1_: ; @_ZN7rocprim17ROCPRIM_400000_NS6detail17trampoline_kernelINS0_14default_configENS1_25partition_config_selectorILNS1_17partition_subalgoE5EiNS0_10empty_typeEbEEZZNS1_14partition_implILS5_5ELb0ES3_mN6thrust23THRUST_200600_302600_NS17counting_iteratorIiNSA_11use_defaultESC_SC_EEPS6_NSA_18transform_iteratorINSA_8identityIiEENSA_6detail15normal_iteratorINSA_10device_ptrIiEEEESC_SC_EENS0_5tupleIJSM_S6_EEENSO_IJSE_SE_EEES6_PlJS6_EEE10hipError_tPvRmT3_T4_T5_T6_T7_T9_mT8_P12ihipStream_tbDpT10_ENKUlT_T0_E_clISt17integral_constantIbLb1EES1A_IbLb0EEEEDaS16_S17_EUlS16_E_NS1_11comp_targetILNS1_3genE9ELNS1_11target_archE1100ELNS1_3gpuE3ELNS1_3repE0EEENS1_30default_config_static_selectorELNS0_4arch9wavefront6targetE1EEEvT1_
; %bb.0:
	.section	.rodata,"a",@progbits
	.p2align	6, 0x0
	.amdhsa_kernel _ZN7rocprim17ROCPRIM_400000_NS6detail17trampoline_kernelINS0_14default_configENS1_25partition_config_selectorILNS1_17partition_subalgoE5EiNS0_10empty_typeEbEEZZNS1_14partition_implILS5_5ELb0ES3_mN6thrust23THRUST_200600_302600_NS17counting_iteratorIiNSA_11use_defaultESC_SC_EEPS6_NSA_18transform_iteratorINSA_8identityIiEENSA_6detail15normal_iteratorINSA_10device_ptrIiEEEESC_SC_EENS0_5tupleIJSM_S6_EEENSO_IJSE_SE_EEES6_PlJS6_EEE10hipError_tPvRmT3_T4_T5_T6_T7_T9_mT8_P12ihipStream_tbDpT10_ENKUlT_T0_E_clISt17integral_constantIbLb1EES1A_IbLb0EEEEDaS16_S17_EUlS16_E_NS1_11comp_targetILNS1_3genE9ELNS1_11target_archE1100ELNS1_3gpuE3ELNS1_3repE0EEENS1_30default_config_static_selectorELNS0_4arch9wavefront6targetE1EEEvT1_
		.amdhsa_group_segment_fixed_size 0
		.amdhsa_private_segment_fixed_size 0
		.amdhsa_kernarg_size 120
		.amdhsa_user_sgpr_count 6
		.amdhsa_user_sgpr_private_segment_buffer 1
		.amdhsa_user_sgpr_dispatch_ptr 0
		.amdhsa_user_sgpr_queue_ptr 0
		.amdhsa_user_sgpr_kernarg_segment_ptr 1
		.amdhsa_user_sgpr_dispatch_id 0
		.amdhsa_user_sgpr_flat_scratch_init 0
		.amdhsa_user_sgpr_kernarg_preload_length 0
		.amdhsa_user_sgpr_kernarg_preload_offset 0
		.amdhsa_user_sgpr_private_segment_size 0
		.amdhsa_uses_dynamic_stack 0
		.amdhsa_system_sgpr_private_segment_wavefront_offset 0
		.amdhsa_system_sgpr_workgroup_id_x 1
		.amdhsa_system_sgpr_workgroup_id_y 0
		.amdhsa_system_sgpr_workgroup_id_z 0
		.amdhsa_system_sgpr_workgroup_info 0
		.amdhsa_system_vgpr_workitem_id 0
		.amdhsa_next_free_vgpr 1
		.amdhsa_next_free_sgpr 0
		.amdhsa_accum_offset 4
		.amdhsa_reserve_vcc 0
		.amdhsa_reserve_flat_scratch 0
		.amdhsa_float_round_mode_32 0
		.amdhsa_float_round_mode_16_64 0
		.amdhsa_float_denorm_mode_32 3
		.amdhsa_float_denorm_mode_16_64 3
		.amdhsa_dx10_clamp 1
		.amdhsa_ieee_mode 1
		.amdhsa_fp16_overflow 0
		.amdhsa_tg_split 0
		.amdhsa_exception_fp_ieee_invalid_op 0
		.amdhsa_exception_fp_denorm_src 0
		.amdhsa_exception_fp_ieee_div_zero 0
		.amdhsa_exception_fp_ieee_overflow 0
		.amdhsa_exception_fp_ieee_underflow 0
		.amdhsa_exception_fp_ieee_inexact 0
		.amdhsa_exception_int_div_zero 0
	.end_amdhsa_kernel
	.section	.text._ZN7rocprim17ROCPRIM_400000_NS6detail17trampoline_kernelINS0_14default_configENS1_25partition_config_selectorILNS1_17partition_subalgoE5EiNS0_10empty_typeEbEEZZNS1_14partition_implILS5_5ELb0ES3_mN6thrust23THRUST_200600_302600_NS17counting_iteratorIiNSA_11use_defaultESC_SC_EEPS6_NSA_18transform_iteratorINSA_8identityIiEENSA_6detail15normal_iteratorINSA_10device_ptrIiEEEESC_SC_EENS0_5tupleIJSM_S6_EEENSO_IJSE_SE_EEES6_PlJS6_EEE10hipError_tPvRmT3_T4_T5_T6_T7_T9_mT8_P12ihipStream_tbDpT10_ENKUlT_T0_E_clISt17integral_constantIbLb1EES1A_IbLb0EEEEDaS16_S17_EUlS16_E_NS1_11comp_targetILNS1_3genE9ELNS1_11target_archE1100ELNS1_3gpuE3ELNS1_3repE0EEENS1_30default_config_static_selectorELNS0_4arch9wavefront6targetE1EEEvT1_,"axG",@progbits,_ZN7rocprim17ROCPRIM_400000_NS6detail17trampoline_kernelINS0_14default_configENS1_25partition_config_selectorILNS1_17partition_subalgoE5EiNS0_10empty_typeEbEEZZNS1_14partition_implILS5_5ELb0ES3_mN6thrust23THRUST_200600_302600_NS17counting_iteratorIiNSA_11use_defaultESC_SC_EEPS6_NSA_18transform_iteratorINSA_8identityIiEENSA_6detail15normal_iteratorINSA_10device_ptrIiEEEESC_SC_EENS0_5tupleIJSM_S6_EEENSO_IJSE_SE_EEES6_PlJS6_EEE10hipError_tPvRmT3_T4_T5_T6_T7_T9_mT8_P12ihipStream_tbDpT10_ENKUlT_T0_E_clISt17integral_constantIbLb1EES1A_IbLb0EEEEDaS16_S17_EUlS16_E_NS1_11comp_targetILNS1_3genE9ELNS1_11target_archE1100ELNS1_3gpuE3ELNS1_3repE0EEENS1_30default_config_static_selectorELNS0_4arch9wavefront6targetE1EEEvT1_,comdat
.Lfunc_end34:
	.size	_ZN7rocprim17ROCPRIM_400000_NS6detail17trampoline_kernelINS0_14default_configENS1_25partition_config_selectorILNS1_17partition_subalgoE5EiNS0_10empty_typeEbEEZZNS1_14partition_implILS5_5ELb0ES3_mN6thrust23THRUST_200600_302600_NS17counting_iteratorIiNSA_11use_defaultESC_SC_EEPS6_NSA_18transform_iteratorINSA_8identityIiEENSA_6detail15normal_iteratorINSA_10device_ptrIiEEEESC_SC_EENS0_5tupleIJSM_S6_EEENSO_IJSE_SE_EEES6_PlJS6_EEE10hipError_tPvRmT3_T4_T5_T6_T7_T9_mT8_P12ihipStream_tbDpT10_ENKUlT_T0_E_clISt17integral_constantIbLb1EES1A_IbLb0EEEEDaS16_S17_EUlS16_E_NS1_11comp_targetILNS1_3genE9ELNS1_11target_archE1100ELNS1_3gpuE3ELNS1_3repE0EEENS1_30default_config_static_selectorELNS0_4arch9wavefront6targetE1EEEvT1_, .Lfunc_end34-_ZN7rocprim17ROCPRIM_400000_NS6detail17trampoline_kernelINS0_14default_configENS1_25partition_config_selectorILNS1_17partition_subalgoE5EiNS0_10empty_typeEbEEZZNS1_14partition_implILS5_5ELb0ES3_mN6thrust23THRUST_200600_302600_NS17counting_iteratorIiNSA_11use_defaultESC_SC_EEPS6_NSA_18transform_iteratorINSA_8identityIiEENSA_6detail15normal_iteratorINSA_10device_ptrIiEEEESC_SC_EENS0_5tupleIJSM_S6_EEENSO_IJSE_SE_EEES6_PlJS6_EEE10hipError_tPvRmT3_T4_T5_T6_T7_T9_mT8_P12ihipStream_tbDpT10_ENKUlT_T0_E_clISt17integral_constantIbLb1EES1A_IbLb0EEEEDaS16_S17_EUlS16_E_NS1_11comp_targetILNS1_3genE9ELNS1_11target_archE1100ELNS1_3gpuE3ELNS1_3repE0EEENS1_30default_config_static_selectorELNS0_4arch9wavefront6targetE1EEEvT1_
                                        ; -- End function
	.section	.AMDGPU.csdata,"",@progbits
; Kernel info:
; codeLenInByte = 0
; NumSgprs: 4
; NumVgprs: 0
; NumAgprs: 0
; TotalNumVgprs: 0
; ScratchSize: 0
; MemoryBound: 0
; FloatMode: 240
; IeeeMode: 1
; LDSByteSize: 0 bytes/workgroup (compile time only)
; SGPRBlocks: 0
; VGPRBlocks: 0
; NumSGPRsForWavesPerEU: 4
; NumVGPRsForWavesPerEU: 1
; AccumOffset: 4
; Occupancy: 8
; WaveLimiterHint : 0
; COMPUTE_PGM_RSRC2:SCRATCH_EN: 0
; COMPUTE_PGM_RSRC2:USER_SGPR: 6
; COMPUTE_PGM_RSRC2:TRAP_HANDLER: 0
; COMPUTE_PGM_RSRC2:TGID_X_EN: 1
; COMPUTE_PGM_RSRC2:TGID_Y_EN: 0
; COMPUTE_PGM_RSRC2:TGID_Z_EN: 0
; COMPUTE_PGM_RSRC2:TIDIG_COMP_CNT: 0
; COMPUTE_PGM_RSRC3_GFX90A:ACCUM_OFFSET: 0
; COMPUTE_PGM_RSRC3_GFX90A:TG_SPLIT: 0
	.section	.text._ZN7rocprim17ROCPRIM_400000_NS6detail17trampoline_kernelINS0_14default_configENS1_25partition_config_selectorILNS1_17partition_subalgoE5EiNS0_10empty_typeEbEEZZNS1_14partition_implILS5_5ELb0ES3_mN6thrust23THRUST_200600_302600_NS17counting_iteratorIiNSA_11use_defaultESC_SC_EEPS6_NSA_18transform_iteratorINSA_8identityIiEENSA_6detail15normal_iteratorINSA_10device_ptrIiEEEESC_SC_EENS0_5tupleIJSM_S6_EEENSO_IJSE_SE_EEES6_PlJS6_EEE10hipError_tPvRmT3_T4_T5_T6_T7_T9_mT8_P12ihipStream_tbDpT10_ENKUlT_T0_E_clISt17integral_constantIbLb1EES1A_IbLb0EEEEDaS16_S17_EUlS16_E_NS1_11comp_targetILNS1_3genE8ELNS1_11target_archE1030ELNS1_3gpuE2ELNS1_3repE0EEENS1_30default_config_static_selectorELNS0_4arch9wavefront6targetE1EEEvT1_,"axG",@progbits,_ZN7rocprim17ROCPRIM_400000_NS6detail17trampoline_kernelINS0_14default_configENS1_25partition_config_selectorILNS1_17partition_subalgoE5EiNS0_10empty_typeEbEEZZNS1_14partition_implILS5_5ELb0ES3_mN6thrust23THRUST_200600_302600_NS17counting_iteratorIiNSA_11use_defaultESC_SC_EEPS6_NSA_18transform_iteratorINSA_8identityIiEENSA_6detail15normal_iteratorINSA_10device_ptrIiEEEESC_SC_EENS0_5tupleIJSM_S6_EEENSO_IJSE_SE_EEES6_PlJS6_EEE10hipError_tPvRmT3_T4_T5_T6_T7_T9_mT8_P12ihipStream_tbDpT10_ENKUlT_T0_E_clISt17integral_constantIbLb1EES1A_IbLb0EEEEDaS16_S17_EUlS16_E_NS1_11comp_targetILNS1_3genE8ELNS1_11target_archE1030ELNS1_3gpuE2ELNS1_3repE0EEENS1_30default_config_static_selectorELNS0_4arch9wavefront6targetE1EEEvT1_,comdat
	.protected	_ZN7rocprim17ROCPRIM_400000_NS6detail17trampoline_kernelINS0_14default_configENS1_25partition_config_selectorILNS1_17partition_subalgoE5EiNS0_10empty_typeEbEEZZNS1_14partition_implILS5_5ELb0ES3_mN6thrust23THRUST_200600_302600_NS17counting_iteratorIiNSA_11use_defaultESC_SC_EEPS6_NSA_18transform_iteratorINSA_8identityIiEENSA_6detail15normal_iteratorINSA_10device_ptrIiEEEESC_SC_EENS0_5tupleIJSM_S6_EEENSO_IJSE_SE_EEES6_PlJS6_EEE10hipError_tPvRmT3_T4_T5_T6_T7_T9_mT8_P12ihipStream_tbDpT10_ENKUlT_T0_E_clISt17integral_constantIbLb1EES1A_IbLb0EEEEDaS16_S17_EUlS16_E_NS1_11comp_targetILNS1_3genE8ELNS1_11target_archE1030ELNS1_3gpuE2ELNS1_3repE0EEENS1_30default_config_static_selectorELNS0_4arch9wavefront6targetE1EEEvT1_ ; -- Begin function _ZN7rocprim17ROCPRIM_400000_NS6detail17trampoline_kernelINS0_14default_configENS1_25partition_config_selectorILNS1_17partition_subalgoE5EiNS0_10empty_typeEbEEZZNS1_14partition_implILS5_5ELb0ES3_mN6thrust23THRUST_200600_302600_NS17counting_iteratorIiNSA_11use_defaultESC_SC_EEPS6_NSA_18transform_iteratorINSA_8identityIiEENSA_6detail15normal_iteratorINSA_10device_ptrIiEEEESC_SC_EENS0_5tupleIJSM_S6_EEENSO_IJSE_SE_EEES6_PlJS6_EEE10hipError_tPvRmT3_T4_T5_T6_T7_T9_mT8_P12ihipStream_tbDpT10_ENKUlT_T0_E_clISt17integral_constantIbLb1EES1A_IbLb0EEEEDaS16_S17_EUlS16_E_NS1_11comp_targetILNS1_3genE8ELNS1_11target_archE1030ELNS1_3gpuE2ELNS1_3repE0EEENS1_30default_config_static_selectorELNS0_4arch9wavefront6targetE1EEEvT1_
	.globl	_ZN7rocprim17ROCPRIM_400000_NS6detail17trampoline_kernelINS0_14default_configENS1_25partition_config_selectorILNS1_17partition_subalgoE5EiNS0_10empty_typeEbEEZZNS1_14partition_implILS5_5ELb0ES3_mN6thrust23THRUST_200600_302600_NS17counting_iteratorIiNSA_11use_defaultESC_SC_EEPS6_NSA_18transform_iteratorINSA_8identityIiEENSA_6detail15normal_iteratorINSA_10device_ptrIiEEEESC_SC_EENS0_5tupleIJSM_S6_EEENSO_IJSE_SE_EEES6_PlJS6_EEE10hipError_tPvRmT3_T4_T5_T6_T7_T9_mT8_P12ihipStream_tbDpT10_ENKUlT_T0_E_clISt17integral_constantIbLb1EES1A_IbLb0EEEEDaS16_S17_EUlS16_E_NS1_11comp_targetILNS1_3genE8ELNS1_11target_archE1030ELNS1_3gpuE2ELNS1_3repE0EEENS1_30default_config_static_selectorELNS0_4arch9wavefront6targetE1EEEvT1_
	.p2align	8
	.type	_ZN7rocprim17ROCPRIM_400000_NS6detail17trampoline_kernelINS0_14default_configENS1_25partition_config_selectorILNS1_17partition_subalgoE5EiNS0_10empty_typeEbEEZZNS1_14partition_implILS5_5ELb0ES3_mN6thrust23THRUST_200600_302600_NS17counting_iteratorIiNSA_11use_defaultESC_SC_EEPS6_NSA_18transform_iteratorINSA_8identityIiEENSA_6detail15normal_iteratorINSA_10device_ptrIiEEEESC_SC_EENS0_5tupleIJSM_S6_EEENSO_IJSE_SE_EEES6_PlJS6_EEE10hipError_tPvRmT3_T4_T5_T6_T7_T9_mT8_P12ihipStream_tbDpT10_ENKUlT_T0_E_clISt17integral_constantIbLb1EES1A_IbLb0EEEEDaS16_S17_EUlS16_E_NS1_11comp_targetILNS1_3genE8ELNS1_11target_archE1030ELNS1_3gpuE2ELNS1_3repE0EEENS1_30default_config_static_selectorELNS0_4arch9wavefront6targetE1EEEvT1_,@function
_ZN7rocprim17ROCPRIM_400000_NS6detail17trampoline_kernelINS0_14default_configENS1_25partition_config_selectorILNS1_17partition_subalgoE5EiNS0_10empty_typeEbEEZZNS1_14partition_implILS5_5ELb0ES3_mN6thrust23THRUST_200600_302600_NS17counting_iteratorIiNSA_11use_defaultESC_SC_EEPS6_NSA_18transform_iteratorINSA_8identityIiEENSA_6detail15normal_iteratorINSA_10device_ptrIiEEEESC_SC_EENS0_5tupleIJSM_S6_EEENSO_IJSE_SE_EEES6_PlJS6_EEE10hipError_tPvRmT3_T4_T5_T6_T7_T9_mT8_P12ihipStream_tbDpT10_ENKUlT_T0_E_clISt17integral_constantIbLb1EES1A_IbLb0EEEEDaS16_S17_EUlS16_E_NS1_11comp_targetILNS1_3genE8ELNS1_11target_archE1030ELNS1_3gpuE2ELNS1_3repE0EEENS1_30default_config_static_selectorELNS0_4arch9wavefront6targetE1EEEvT1_: ; @_ZN7rocprim17ROCPRIM_400000_NS6detail17trampoline_kernelINS0_14default_configENS1_25partition_config_selectorILNS1_17partition_subalgoE5EiNS0_10empty_typeEbEEZZNS1_14partition_implILS5_5ELb0ES3_mN6thrust23THRUST_200600_302600_NS17counting_iteratorIiNSA_11use_defaultESC_SC_EEPS6_NSA_18transform_iteratorINSA_8identityIiEENSA_6detail15normal_iteratorINSA_10device_ptrIiEEEESC_SC_EENS0_5tupleIJSM_S6_EEENSO_IJSE_SE_EEES6_PlJS6_EEE10hipError_tPvRmT3_T4_T5_T6_T7_T9_mT8_P12ihipStream_tbDpT10_ENKUlT_T0_E_clISt17integral_constantIbLb1EES1A_IbLb0EEEEDaS16_S17_EUlS16_E_NS1_11comp_targetILNS1_3genE8ELNS1_11target_archE1030ELNS1_3gpuE2ELNS1_3repE0EEENS1_30default_config_static_selectorELNS0_4arch9wavefront6targetE1EEEvT1_
; %bb.0:
	.section	.rodata,"a",@progbits
	.p2align	6, 0x0
	.amdhsa_kernel _ZN7rocprim17ROCPRIM_400000_NS6detail17trampoline_kernelINS0_14default_configENS1_25partition_config_selectorILNS1_17partition_subalgoE5EiNS0_10empty_typeEbEEZZNS1_14partition_implILS5_5ELb0ES3_mN6thrust23THRUST_200600_302600_NS17counting_iteratorIiNSA_11use_defaultESC_SC_EEPS6_NSA_18transform_iteratorINSA_8identityIiEENSA_6detail15normal_iteratorINSA_10device_ptrIiEEEESC_SC_EENS0_5tupleIJSM_S6_EEENSO_IJSE_SE_EEES6_PlJS6_EEE10hipError_tPvRmT3_T4_T5_T6_T7_T9_mT8_P12ihipStream_tbDpT10_ENKUlT_T0_E_clISt17integral_constantIbLb1EES1A_IbLb0EEEEDaS16_S17_EUlS16_E_NS1_11comp_targetILNS1_3genE8ELNS1_11target_archE1030ELNS1_3gpuE2ELNS1_3repE0EEENS1_30default_config_static_selectorELNS0_4arch9wavefront6targetE1EEEvT1_
		.amdhsa_group_segment_fixed_size 0
		.amdhsa_private_segment_fixed_size 0
		.amdhsa_kernarg_size 120
		.amdhsa_user_sgpr_count 6
		.amdhsa_user_sgpr_private_segment_buffer 1
		.amdhsa_user_sgpr_dispatch_ptr 0
		.amdhsa_user_sgpr_queue_ptr 0
		.amdhsa_user_sgpr_kernarg_segment_ptr 1
		.amdhsa_user_sgpr_dispatch_id 0
		.amdhsa_user_sgpr_flat_scratch_init 0
		.amdhsa_user_sgpr_kernarg_preload_length 0
		.amdhsa_user_sgpr_kernarg_preload_offset 0
		.amdhsa_user_sgpr_private_segment_size 0
		.amdhsa_uses_dynamic_stack 0
		.amdhsa_system_sgpr_private_segment_wavefront_offset 0
		.amdhsa_system_sgpr_workgroup_id_x 1
		.amdhsa_system_sgpr_workgroup_id_y 0
		.amdhsa_system_sgpr_workgroup_id_z 0
		.amdhsa_system_sgpr_workgroup_info 0
		.amdhsa_system_vgpr_workitem_id 0
		.amdhsa_next_free_vgpr 1
		.amdhsa_next_free_sgpr 0
		.amdhsa_accum_offset 4
		.amdhsa_reserve_vcc 0
		.amdhsa_reserve_flat_scratch 0
		.amdhsa_float_round_mode_32 0
		.amdhsa_float_round_mode_16_64 0
		.amdhsa_float_denorm_mode_32 3
		.amdhsa_float_denorm_mode_16_64 3
		.amdhsa_dx10_clamp 1
		.amdhsa_ieee_mode 1
		.amdhsa_fp16_overflow 0
		.amdhsa_tg_split 0
		.amdhsa_exception_fp_ieee_invalid_op 0
		.amdhsa_exception_fp_denorm_src 0
		.amdhsa_exception_fp_ieee_div_zero 0
		.amdhsa_exception_fp_ieee_overflow 0
		.amdhsa_exception_fp_ieee_underflow 0
		.amdhsa_exception_fp_ieee_inexact 0
		.amdhsa_exception_int_div_zero 0
	.end_amdhsa_kernel
	.section	.text._ZN7rocprim17ROCPRIM_400000_NS6detail17trampoline_kernelINS0_14default_configENS1_25partition_config_selectorILNS1_17partition_subalgoE5EiNS0_10empty_typeEbEEZZNS1_14partition_implILS5_5ELb0ES3_mN6thrust23THRUST_200600_302600_NS17counting_iteratorIiNSA_11use_defaultESC_SC_EEPS6_NSA_18transform_iteratorINSA_8identityIiEENSA_6detail15normal_iteratorINSA_10device_ptrIiEEEESC_SC_EENS0_5tupleIJSM_S6_EEENSO_IJSE_SE_EEES6_PlJS6_EEE10hipError_tPvRmT3_T4_T5_T6_T7_T9_mT8_P12ihipStream_tbDpT10_ENKUlT_T0_E_clISt17integral_constantIbLb1EES1A_IbLb0EEEEDaS16_S17_EUlS16_E_NS1_11comp_targetILNS1_3genE8ELNS1_11target_archE1030ELNS1_3gpuE2ELNS1_3repE0EEENS1_30default_config_static_selectorELNS0_4arch9wavefront6targetE1EEEvT1_,"axG",@progbits,_ZN7rocprim17ROCPRIM_400000_NS6detail17trampoline_kernelINS0_14default_configENS1_25partition_config_selectorILNS1_17partition_subalgoE5EiNS0_10empty_typeEbEEZZNS1_14partition_implILS5_5ELb0ES3_mN6thrust23THRUST_200600_302600_NS17counting_iteratorIiNSA_11use_defaultESC_SC_EEPS6_NSA_18transform_iteratorINSA_8identityIiEENSA_6detail15normal_iteratorINSA_10device_ptrIiEEEESC_SC_EENS0_5tupleIJSM_S6_EEENSO_IJSE_SE_EEES6_PlJS6_EEE10hipError_tPvRmT3_T4_T5_T6_T7_T9_mT8_P12ihipStream_tbDpT10_ENKUlT_T0_E_clISt17integral_constantIbLb1EES1A_IbLb0EEEEDaS16_S17_EUlS16_E_NS1_11comp_targetILNS1_3genE8ELNS1_11target_archE1030ELNS1_3gpuE2ELNS1_3repE0EEENS1_30default_config_static_selectorELNS0_4arch9wavefront6targetE1EEEvT1_,comdat
.Lfunc_end35:
	.size	_ZN7rocprim17ROCPRIM_400000_NS6detail17trampoline_kernelINS0_14default_configENS1_25partition_config_selectorILNS1_17partition_subalgoE5EiNS0_10empty_typeEbEEZZNS1_14partition_implILS5_5ELb0ES3_mN6thrust23THRUST_200600_302600_NS17counting_iteratorIiNSA_11use_defaultESC_SC_EEPS6_NSA_18transform_iteratorINSA_8identityIiEENSA_6detail15normal_iteratorINSA_10device_ptrIiEEEESC_SC_EENS0_5tupleIJSM_S6_EEENSO_IJSE_SE_EEES6_PlJS6_EEE10hipError_tPvRmT3_T4_T5_T6_T7_T9_mT8_P12ihipStream_tbDpT10_ENKUlT_T0_E_clISt17integral_constantIbLb1EES1A_IbLb0EEEEDaS16_S17_EUlS16_E_NS1_11comp_targetILNS1_3genE8ELNS1_11target_archE1030ELNS1_3gpuE2ELNS1_3repE0EEENS1_30default_config_static_selectorELNS0_4arch9wavefront6targetE1EEEvT1_, .Lfunc_end35-_ZN7rocprim17ROCPRIM_400000_NS6detail17trampoline_kernelINS0_14default_configENS1_25partition_config_selectorILNS1_17partition_subalgoE5EiNS0_10empty_typeEbEEZZNS1_14partition_implILS5_5ELb0ES3_mN6thrust23THRUST_200600_302600_NS17counting_iteratorIiNSA_11use_defaultESC_SC_EEPS6_NSA_18transform_iteratorINSA_8identityIiEENSA_6detail15normal_iteratorINSA_10device_ptrIiEEEESC_SC_EENS0_5tupleIJSM_S6_EEENSO_IJSE_SE_EEES6_PlJS6_EEE10hipError_tPvRmT3_T4_T5_T6_T7_T9_mT8_P12ihipStream_tbDpT10_ENKUlT_T0_E_clISt17integral_constantIbLb1EES1A_IbLb0EEEEDaS16_S17_EUlS16_E_NS1_11comp_targetILNS1_3genE8ELNS1_11target_archE1030ELNS1_3gpuE2ELNS1_3repE0EEENS1_30default_config_static_selectorELNS0_4arch9wavefront6targetE1EEEvT1_
                                        ; -- End function
	.section	.AMDGPU.csdata,"",@progbits
; Kernel info:
; codeLenInByte = 0
; NumSgprs: 4
; NumVgprs: 0
; NumAgprs: 0
; TotalNumVgprs: 0
; ScratchSize: 0
; MemoryBound: 0
; FloatMode: 240
; IeeeMode: 1
; LDSByteSize: 0 bytes/workgroup (compile time only)
; SGPRBlocks: 0
; VGPRBlocks: 0
; NumSGPRsForWavesPerEU: 4
; NumVGPRsForWavesPerEU: 1
; AccumOffset: 4
; Occupancy: 8
; WaveLimiterHint : 0
; COMPUTE_PGM_RSRC2:SCRATCH_EN: 0
; COMPUTE_PGM_RSRC2:USER_SGPR: 6
; COMPUTE_PGM_RSRC2:TRAP_HANDLER: 0
; COMPUTE_PGM_RSRC2:TGID_X_EN: 1
; COMPUTE_PGM_RSRC2:TGID_Y_EN: 0
; COMPUTE_PGM_RSRC2:TGID_Z_EN: 0
; COMPUTE_PGM_RSRC2:TIDIG_COMP_CNT: 0
; COMPUTE_PGM_RSRC3_GFX90A:ACCUM_OFFSET: 0
; COMPUTE_PGM_RSRC3_GFX90A:TG_SPLIT: 0
	.section	.text._ZN7rocprim17ROCPRIM_400000_NS6detail31init_lookback_scan_state_kernelINS1_19lookback_scan_stateImLb0ELb1EEENS1_16block_id_wrapperIjLb1EEEEEvT_jT0_jPNS7_10value_typeE,"axG",@progbits,_ZN7rocprim17ROCPRIM_400000_NS6detail31init_lookback_scan_state_kernelINS1_19lookback_scan_stateImLb0ELb1EEENS1_16block_id_wrapperIjLb1EEEEEvT_jT0_jPNS7_10value_typeE,comdat
	.protected	_ZN7rocprim17ROCPRIM_400000_NS6detail31init_lookback_scan_state_kernelINS1_19lookback_scan_stateImLb0ELb1EEENS1_16block_id_wrapperIjLb1EEEEEvT_jT0_jPNS7_10value_typeE ; -- Begin function _ZN7rocprim17ROCPRIM_400000_NS6detail31init_lookback_scan_state_kernelINS1_19lookback_scan_stateImLb0ELb1EEENS1_16block_id_wrapperIjLb1EEEEEvT_jT0_jPNS7_10value_typeE
	.globl	_ZN7rocprim17ROCPRIM_400000_NS6detail31init_lookback_scan_state_kernelINS1_19lookback_scan_stateImLb0ELb1EEENS1_16block_id_wrapperIjLb1EEEEEvT_jT0_jPNS7_10value_typeE
	.p2align	8
	.type	_ZN7rocprim17ROCPRIM_400000_NS6detail31init_lookback_scan_state_kernelINS1_19lookback_scan_stateImLb0ELb1EEENS1_16block_id_wrapperIjLb1EEEEEvT_jT0_jPNS7_10value_typeE,@function
_ZN7rocprim17ROCPRIM_400000_NS6detail31init_lookback_scan_state_kernelINS1_19lookback_scan_stateImLb0ELb1EEENS1_16block_id_wrapperIjLb1EEEEEvT_jT0_jPNS7_10value_typeE: ; @_ZN7rocprim17ROCPRIM_400000_NS6detail31init_lookback_scan_state_kernelINS1_19lookback_scan_stateImLb0ELb1EEENS1_16block_id_wrapperIjLb1EEEEEvT_jT0_jPNS7_10value_typeE
; %bb.0:
	s_load_dword s7, s[4:5], 0x34
	s_load_dwordx2 s[2:3], s[4:5], 0x20
	s_load_dwordx2 s[0:1], s[4:5], 0x0
	s_load_dword s14, s[4:5], 0x8
	s_waitcnt lgkmcnt(0)
	s_and_b32 s7, s7, 0xffff
	s_mul_i32 s6, s6, s7
	s_cmp_eq_u64 s[2:3], 0
	v_add_u32_e32 v0, s6, v0
	s_cbranch_scc1 .LBB36_8
; %bb.1:
	s_load_dword s8, s[4:5], 0x18
	s_mov_b32 s9, 0
	s_waitcnt lgkmcnt(0)
	s_cmp_lt_u32 s8, s14
	s_cselect_b32 s6, s8, 0
	v_cmp_eq_u32_e32 vcc, s6, v0
	s_and_saveexec_b64 s[6:7], vcc
	s_cbranch_execz .LBB36_7
; %bb.2:
	s_add_i32 s8, s8, 64
	s_lshl_b64 s[8:9], s[8:9], 4
	s_add_u32 s12, s0, s8
	s_addc_u32 s13, s1, s9
	v_pk_mov_b32 v[2:3], s[12:13], s[12:13] op_sel:[0,1]
	;;#ASMSTART
	global_load_dwordx4 v[2:5], v[2:3] off glc	
s_waitcnt vmcnt(0)
	;;#ASMEND
	v_mov_b32_e32 v7, 0
	v_and_b32_e32 v6, 0xff, v4
	s_mov_b64 s[10:11], 0
	v_cmp_eq_u64_e32 vcc, 0, v[6:7]
	s_and_saveexec_b64 s[8:9], vcc
	s_cbranch_execz .LBB36_6
; %bb.3:
	v_pk_mov_b32 v[8:9], s[12:13], s[12:13] op_sel:[0,1]
.LBB36_4:                               ; =>This Inner Loop Header: Depth=1
	;;#ASMSTART
	global_load_dwordx4 v[2:5], v[8:9] off glc	
s_waitcnt vmcnt(0)
	;;#ASMEND
	v_and_b32_e32 v6, 0xff, v4
	v_cmp_ne_u64_e32 vcc, 0, v[6:7]
	s_or_b64 s[10:11], vcc, s[10:11]
	s_andn2_b64 exec, exec, s[10:11]
	s_cbranch_execnz .LBB36_4
; %bb.5:
	s_or_b64 exec, exec, s[10:11]
.LBB36_6:
	s_or_b64 exec, exec, s[8:9]
	v_mov_b32_e32 v1, 0
	global_store_dwordx2 v1, v[2:3], s[2:3]
.LBB36_7:
	s_or_b64 exec, exec, s[6:7]
.LBB36_8:
	v_cmp_eq_u32_e32 vcc, 0, v0
	s_and_saveexec_b64 s[2:3], vcc
	s_cbranch_execnz .LBB36_12
; %bb.9:
	s_or_b64 exec, exec, s[2:3]
	v_cmp_gt_u32_e32 vcc, s14, v0
	s_and_saveexec_b64 s[2:3], vcc
	s_cbranch_execnz .LBB36_13
.LBB36_10:
	s_or_b64 exec, exec, s[2:3]
	v_cmp_gt_u32_e32 vcc, 64, v0
	s_and_saveexec_b64 s[2:3], vcc
	s_cbranch_execnz .LBB36_14
.LBB36_11:
	s_endpgm
.LBB36_12:
	s_load_dwordx2 s[4:5], s[4:5], 0x10
	v_mov_b32_e32 v1, 0
	s_waitcnt lgkmcnt(0)
	global_store_dword v1, v1, s[4:5]
	s_or_b64 exec, exec, s[2:3]
	v_cmp_gt_u32_e32 vcc, s14, v0
	s_and_saveexec_b64 s[2:3], vcc
	s_cbranch_execz .LBB36_10
.LBB36_13:
	v_add_u32_e32 v2, 64, v0
	v_mov_b32_e32 v3, 0
	v_lshlrev_b64 v[4:5], 4, v[2:3]
	v_mov_b32_e32 v1, s1
	v_add_co_u32_e32 v6, vcc, s0, v4
	v_addc_co_u32_e32 v7, vcc, v1, v5, vcc
	v_mov_b32_e32 v2, v3
	v_mov_b32_e32 v4, v3
	;; [unrolled: 1-line block ×3, first 2 shown]
	global_store_dwordx4 v[6:7], v[2:5], off
	s_or_b64 exec, exec, s[2:3]
	v_cmp_gt_u32_e32 vcc, 64, v0
	s_and_saveexec_b64 s[2:3], vcc
	s_cbranch_execz .LBB36_11
.LBB36_14:
	v_mov_b32_e32 v1, 0
	v_lshlrev_b64 v[2:3], 4, v[0:1]
	v_mov_b32_e32 v0, s1
	v_add_co_u32_e32 v4, vcc, s0, v2
	v_addc_co_u32_e32 v5, vcc, v0, v3, vcc
	v_mov_b32_e32 v2, 0xff
	v_mov_b32_e32 v0, v1
	;; [unrolled: 1-line block ×3, first 2 shown]
	global_store_dwordx4 v[4:5], v[0:3], off
	s_endpgm
	.section	.rodata,"a",@progbits
	.p2align	6, 0x0
	.amdhsa_kernel _ZN7rocprim17ROCPRIM_400000_NS6detail31init_lookback_scan_state_kernelINS1_19lookback_scan_stateImLb0ELb1EEENS1_16block_id_wrapperIjLb1EEEEEvT_jT0_jPNS7_10value_typeE
		.amdhsa_group_segment_fixed_size 0
		.amdhsa_private_segment_fixed_size 0
		.amdhsa_kernarg_size 296
		.amdhsa_user_sgpr_count 6
		.amdhsa_user_sgpr_private_segment_buffer 1
		.amdhsa_user_sgpr_dispatch_ptr 0
		.amdhsa_user_sgpr_queue_ptr 0
		.amdhsa_user_sgpr_kernarg_segment_ptr 1
		.amdhsa_user_sgpr_dispatch_id 0
		.amdhsa_user_sgpr_flat_scratch_init 0
		.amdhsa_user_sgpr_kernarg_preload_length 0
		.amdhsa_user_sgpr_kernarg_preload_offset 0
		.amdhsa_user_sgpr_private_segment_size 0
		.amdhsa_uses_dynamic_stack 0
		.amdhsa_system_sgpr_private_segment_wavefront_offset 0
		.amdhsa_system_sgpr_workgroup_id_x 1
		.amdhsa_system_sgpr_workgroup_id_y 0
		.amdhsa_system_sgpr_workgroup_id_z 0
		.amdhsa_system_sgpr_workgroup_info 0
		.amdhsa_system_vgpr_workitem_id 0
		.amdhsa_next_free_vgpr 10
		.amdhsa_next_free_sgpr 15
		.amdhsa_accum_offset 12
		.amdhsa_reserve_vcc 1
		.amdhsa_reserve_flat_scratch 0
		.amdhsa_float_round_mode_32 0
		.amdhsa_float_round_mode_16_64 0
		.amdhsa_float_denorm_mode_32 3
		.amdhsa_float_denorm_mode_16_64 3
		.amdhsa_dx10_clamp 1
		.amdhsa_ieee_mode 1
		.amdhsa_fp16_overflow 0
		.amdhsa_tg_split 0
		.amdhsa_exception_fp_ieee_invalid_op 0
		.amdhsa_exception_fp_denorm_src 0
		.amdhsa_exception_fp_ieee_div_zero 0
		.amdhsa_exception_fp_ieee_overflow 0
		.amdhsa_exception_fp_ieee_underflow 0
		.amdhsa_exception_fp_ieee_inexact 0
		.amdhsa_exception_int_div_zero 0
	.end_amdhsa_kernel
	.section	.text._ZN7rocprim17ROCPRIM_400000_NS6detail31init_lookback_scan_state_kernelINS1_19lookback_scan_stateImLb0ELb1EEENS1_16block_id_wrapperIjLb1EEEEEvT_jT0_jPNS7_10value_typeE,"axG",@progbits,_ZN7rocprim17ROCPRIM_400000_NS6detail31init_lookback_scan_state_kernelINS1_19lookback_scan_stateImLb0ELb1EEENS1_16block_id_wrapperIjLb1EEEEEvT_jT0_jPNS7_10value_typeE,comdat
.Lfunc_end36:
	.size	_ZN7rocprim17ROCPRIM_400000_NS6detail31init_lookback_scan_state_kernelINS1_19lookback_scan_stateImLb0ELb1EEENS1_16block_id_wrapperIjLb1EEEEEvT_jT0_jPNS7_10value_typeE, .Lfunc_end36-_ZN7rocprim17ROCPRIM_400000_NS6detail31init_lookback_scan_state_kernelINS1_19lookback_scan_stateImLb0ELb1EEENS1_16block_id_wrapperIjLb1EEEEEvT_jT0_jPNS7_10value_typeE
                                        ; -- End function
	.section	.AMDGPU.csdata,"",@progbits
; Kernel info:
; codeLenInByte = 440
; NumSgprs: 19
; NumVgprs: 10
; NumAgprs: 0
; TotalNumVgprs: 10
; ScratchSize: 0
; MemoryBound: 0
; FloatMode: 240
; IeeeMode: 1
; LDSByteSize: 0 bytes/workgroup (compile time only)
; SGPRBlocks: 2
; VGPRBlocks: 1
; NumSGPRsForWavesPerEU: 19
; NumVGPRsForWavesPerEU: 10
; AccumOffset: 12
; Occupancy: 8
; WaveLimiterHint : 0
; COMPUTE_PGM_RSRC2:SCRATCH_EN: 0
; COMPUTE_PGM_RSRC2:USER_SGPR: 6
; COMPUTE_PGM_RSRC2:TRAP_HANDLER: 0
; COMPUTE_PGM_RSRC2:TGID_X_EN: 1
; COMPUTE_PGM_RSRC2:TGID_Y_EN: 0
; COMPUTE_PGM_RSRC2:TGID_Z_EN: 0
; COMPUTE_PGM_RSRC2:TIDIG_COMP_CNT: 0
; COMPUTE_PGM_RSRC3_GFX90A:ACCUM_OFFSET: 2
; COMPUTE_PGM_RSRC3_GFX90A:TG_SPLIT: 0
	.section	.text._ZN7rocprim17ROCPRIM_400000_NS6detail17trampoline_kernelINS0_14default_configENS1_25partition_config_selectorILNS1_17partition_subalgoE5EiNS0_10empty_typeEbEEZZNS1_14partition_implILS5_5ELb0ES3_mN6thrust23THRUST_200600_302600_NS17counting_iteratorIiNSA_11use_defaultESC_SC_EEPS6_NSA_18transform_iteratorINSA_8identityIiEENSA_6detail15normal_iteratorINSA_10device_ptrIiEEEESC_SC_EENS0_5tupleIJSM_S6_EEENSO_IJSE_SE_EEES6_PlJS6_EEE10hipError_tPvRmT3_T4_T5_T6_T7_T9_mT8_P12ihipStream_tbDpT10_ENKUlT_T0_E_clISt17integral_constantIbLb0EES1A_IbLb1EEEEDaS16_S17_EUlS16_E_NS1_11comp_targetILNS1_3genE0ELNS1_11target_archE4294967295ELNS1_3gpuE0ELNS1_3repE0EEENS1_30default_config_static_selectorELNS0_4arch9wavefront6targetE1EEEvT1_,"axG",@progbits,_ZN7rocprim17ROCPRIM_400000_NS6detail17trampoline_kernelINS0_14default_configENS1_25partition_config_selectorILNS1_17partition_subalgoE5EiNS0_10empty_typeEbEEZZNS1_14partition_implILS5_5ELb0ES3_mN6thrust23THRUST_200600_302600_NS17counting_iteratorIiNSA_11use_defaultESC_SC_EEPS6_NSA_18transform_iteratorINSA_8identityIiEENSA_6detail15normal_iteratorINSA_10device_ptrIiEEEESC_SC_EENS0_5tupleIJSM_S6_EEENSO_IJSE_SE_EEES6_PlJS6_EEE10hipError_tPvRmT3_T4_T5_T6_T7_T9_mT8_P12ihipStream_tbDpT10_ENKUlT_T0_E_clISt17integral_constantIbLb0EES1A_IbLb1EEEEDaS16_S17_EUlS16_E_NS1_11comp_targetILNS1_3genE0ELNS1_11target_archE4294967295ELNS1_3gpuE0ELNS1_3repE0EEENS1_30default_config_static_selectorELNS0_4arch9wavefront6targetE1EEEvT1_,comdat
	.protected	_ZN7rocprim17ROCPRIM_400000_NS6detail17trampoline_kernelINS0_14default_configENS1_25partition_config_selectorILNS1_17partition_subalgoE5EiNS0_10empty_typeEbEEZZNS1_14partition_implILS5_5ELb0ES3_mN6thrust23THRUST_200600_302600_NS17counting_iteratorIiNSA_11use_defaultESC_SC_EEPS6_NSA_18transform_iteratorINSA_8identityIiEENSA_6detail15normal_iteratorINSA_10device_ptrIiEEEESC_SC_EENS0_5tupleIJSM_S6_EEENSO_IJSE_SE_EEES6_PlJS6_EEE10hipError_tPvRmT3_T4_T5_T6_T7_T9_mT8_P12ihipStream_tbDpT10_ENKUlT_T0_E_clISt17integral_constantIbLb0EES1A_IbLb1EEEEDaS16_S17_EUlS16_E_NS1_11comp_targetILNS1_3genE0ELNS1_11target_archE4294967295ELNS1_3gpuE0ELNS1_3repE0EEENS1_30default_config_static_selectorELNS0_4arch9wavefront6targetE1EEEvT1_ ; -- Begin function _ZN7rocprim17ROCPRIM_400000_NS6detail17trampoline_kernelINS0_14default_configENS1_25partition_config_selectorILNS1_17partition_subalgoE5EiNS0_10empty_typeEbEEZZNS1_14partition_implILS5_5ELb0ES3_mN6thrust23THRUST_200600_302600_NS17counting_iteratorIiNSA_11use_defaultESC_SC_EEPS6_NSA_18transform_iteratorINSA_8identityIiEENSA_6detail15normal_iteratorINSA_10device_ptrIiEEEESC_SC_EENS0_5tupleIJSM_S6_EEENSO_IJSE_SE_EEES6_PlJS6_EEE10hipError_tPvRmT3_T4_T5_T6_T7_T9_mT8_P12ihipStream_tbDpT10_ENKUlT_T0_E_clISt17integral_constantIbLb0EES1A_IbLb1EEEEDaS16_S17_EUlS16_E_NS1_11comp_targetILNS1_3genE0ELNS1_11target_archE4294967295ELNS1_3gpuE0ELNS1_3repE0EEENS1_30default_config_static_selectorELNS0_4arch9wavefront6targetE1EEEvT1_
	.globl	_ZN7rocprim17ROCPRIM_400000_NS6detail17trampoline_kernelINS0_14default_configENS1_25partition_config_selectorILNS1_17partition_subalgoE5EiNS0_10empty_typeEbEEZZNS1_14partition_implILS5_5ELb0ES3_mN6thrust23THRUST_200600_302600_NS17counting_iteratorIiNSA_11use_defaultESC_SC_EEPS6_NSA_18transform_iteratorINSA_8identityIiEENSA_6detail15normal_iteratorINSA_10device_ptrIiEEEESC_SC_EENS0_5tupleIJSM_S6_EEENSO_IJSE_SE_EEES6_PlJS6_EEE10hipError_tPvRmT3_T4_T5_T6_T7_T9_mT8_P12ihipStream_tbDpT10_ENKUlT_T0_E_clISt17integral_constantIbLb0EES1A_IbLb1EEEEDaS16_S17_EUlS16_E_NS1_11comp_targetILNS1_3genE0ELNS1_11target_archE4294967295ELNS1_3gpuE0ELNS1_3repE0EEENS1_30default_config_static_selectorELNS0_4arch9wavefront6targetE1EEEvT1_
	.p2align	8
	.type	_ZN7rocprim17ROCPRIM_400000_NS6detail17trampoline_kernelINS0_14default_configENS1_25partition_config_selectorILNS1_17partition_subalgoE5EiNS0_10empty_typeEbEEZZNS1_14partition_implILS5_5ELb0ES3_mN6thrust23THRUST_200600_302600_NS17counting_iteratorIiNSA_11use_defaultESC_SC_EEPS6_NSA_18transform_iteratorINSA_8identityIiEENSA_6detail15normal_iteratorINSA_10device_ptrIiEEEESC_SC_EENS0_5tupleIJSM_S6_EEENSO_IJSE_SE_EEES6_PlJS6_EEE10hipError_tPvRmT3_T4_T5_T6_T7_T9_mT8_P12ihipStream_tbDpT10_ENKUlT_T0_E_clISt17integral_constantIbLb0EES1A_IbLb1EEEEDaS16_S17_EUlS16_E_NS1_11comp_targetILNS1_3genE0ELNS1_11target_archE4294967295ELNS1_3gpuE0ELNS1_3repE0EEENS1_30default_config_static_selectorELNS0_4arch9wavefront6targetE1EEEvT1_,@function
_ZN7rocprim17ROCPRIM_400000_NS6detail17trampoline_kernelINS0_14default_configENS1_25partition_config_selectorILNS1_17partition_subalgoE5EiNS0_10empty_typeEbEEZZNS1_14partition_implILS5_5ELb0ES3_mN6thrust23THRUST_200600_302600_NS17counting_iteratorIiNSA_11use_defaultESC_SC_EEPS6_NSA_18transform_iteratorINSA_8identityIiEENSA_6detail15normal_iteratorINSA_10device_ptrIiEEEESC_SC_EENS0_5tupleIJSM_S6_EEENSO_IJSE_SE_EEES6_PlJS6_EEE10hipError_tPvRmT3_T4_T5_T6_T7_T9_mT8_P12ihipStream_tbDpT10_ENKUlT_T0_E_clISt17integral_constantIbLb0EES1A_IbLb1EEEEDaS16_S17_EUlS16_E_NS1_11comp_targetILNS1_3genE0ELNS1_11target_archE4294967295ELNS1_3gpuE0ELNS1_3repE0EEENS1_30default_config_static_selectorELNS0_4arch9wavefront6targetE1EEEvT1_: ; @_ZN7rocprim17ROCPRIM_400000_NS6detail17trampoline_kernelINS0_14default_configENS1_25partition_config_selectorILNS1_17partition_subalgoE5EiNS0_10empty_typeEbEEZZNS1_14partition_implILS5_5ELb0ES3_mN6thrust23THRUST_200600_302600_NS17counting_iteratorIiNSA_11use_defaultESC_SC_EEPS6_NSA_18transform_iteratorINSA_8identityIiEENSA_6detail15normal_iteratorINSA_10device_ptrIiEEEESC_SC_EENS0_5tupleIJSM_S6_EEENSO_IJSE_SE_EEES6_PlJS6_EEE10hipError_tPvRmT3_T4_T5_T6_T7_T9_mT8_P12ihipStream_tbDpT10_ENKUlT_T0_E_clISt17integral_constantIbLb0EES1A_IbLb1EEEEDaS16_S17_EUlS16_E_NS1_11comp_targetILNS1_3genE0ELNS1_11target_archE4294967295ELNS1_3gpuE0ELNS1_3repE0EEENS1_30default_config_static_selectorELNS0_4arch9wavefront6targetE1EEEvT1_
; %bb.0:
	.section	.rodata,"a",@progbits
	.p2align	6, 0x0
	.amdhsa_kernel _ZN7rocprim17ROCPRIM_400000_NS6detail17trampoline_kernelINS0_14default_configENS1_25partition_config_selectorILNS1_17partition_subalgoE5EiNS0_10empty_typeEbEEZZNS1_14partition_implILS5_5ELb0ES3_mN6thrust23THRUST_200600_302600_NS17counting_iteratorIiNSA_11use_defaultESC_SC_EEPS6_NSA_18transform_iteratorINSA_8identityIiEENSA_6detail15normal_iteratorINSA_10device_ptrIiEEEESC_SC_EENS0_5tupleIJSM_S6_EEENSO_IJSE_SE_EEES6_PlJS6_EEE10hipError_tPvRmT3_T4_T5_T6_T7_T9_mT8_P12ihipStream_tbDpT10_ENKUlT_T0_E_clISt17integral_constantIbLb0EES1A_IbLb1EEEEDaS16_S17_EUlS16_E_NS1_11comp_targetILNS1_3genE0ELNS1_11target_archE4294967295ELNS1_3gpuE0ELNS1_3repE0EEENS1_30default_config_static_selectorELNS0_4arch9wavefront6targetE1EEEvT1_
		.amdhsa_group_segment_fixed_size 0
		.amdhsa_private_segment_fixed_size 0
		.amdhsa_kernarg_size 136
		.amdhsa_user_sgpr_count 6
		.amdhsa_user_sgpr_private_segment_buffer 1
		.amdhsa_user_sgpr_dispatch_ptr 0
		.amdhsa_user_sgpr_queue_ptr 0
		.amdhsa_user_sgpr_kernarg_segment_ptr 1
		.amdhsa_user_sgpr_dispatch_id 0
		.amdhsa_user_sgpr_flat_scratch_init 0
		.amdhsa_user_sgpr_kernarg_preload_length 0
		.amdhsa_user_sgpr_kernarg_preload_offset 0
		.amdhsa_user_sgpr_private_segment_size 0
		.amdhsa_uses_dynamic_stack 0
		.amdhsa_system_sgpr_private_segment_wavefront_offset 0
		.amdhsa_system_sgpr_workgroup_id_x 1
		.amdhsa_system_sgpr_workgroup_id_y 0
		.amdhsa_system_sgpr_workgroup_id_z 0
		.amdhsa_system_sgpr_workgroup_info 0
		.amdhsa_system_vgpr_workitem_id 0
		.amdhsa_next_free_vgpr 1
		.amdhsa_next_free_sgpr 0
		.amdhsa_accum_offset 4
		.amdhsa_reserve_vcc 0
		.amdhsa_reserve_flat_scratch 0
		.amdhsa_float_round_mode_32 0
		.amdhsa_float_round_mode_16_64 0
		.amdhsa_float_denorm_mode_32 3
		.amdhsa_float_denorm_mode_16_64 3
		.amdhsa_dx10_clamp 1
		.amdhsa_ieee_mode 1
		.amdhsa_fp16_overflow 0
		.amdhsa_tg_split 0
		.amdhsa_exception_fp_ieee_invalid_op 0
		.amdhsa_exception_fp_denorm_src 0
		.amdhsa_exception_fp_ieee_div_zero 0
		.amdhsa_exception_fp_ieee_overflow 0
		.amdhsa_exception_fp_ieee_underflow 0
		.amdhsa_exception_fp_ieee_inexact 0
		.amdhsa_exception_int_div_zero 0
	.end_amdhsa_kernel
	.section	.text._ZN7rocprim17ROCPRIM_400000_NS6detail17trampoline_kernelINS0_14default_configENS1_25partition_config_selectorILNS1_17partition_subalgoE5EiNS0_10empty_typeEbEEZZNS1_14partition_implILS5_5ELb0ES3_mN6thrust23THRUST_200600_302600_NS17counting_iteratorIiNSA_11use_defaultESC_SC_EEPS6_NSA_18transform_iteratorINSA_8identityIiEENSA_6detail15normal_iteratorINSA_10device_ptrIiEEEESC_SC_EENS0_5tupleIJSM_S6_EEENSO_IJSE_SE_EEES6_PlJS6_EEE10hipError_tPvRmT3_T4_T5_T6_T7_T9_mT8_P12ihipStream_tbDpT10_ENKUlT_T0_E_clISt17integral_constantIbLb0EES1A_IbLb1EEEEDaS16_S17_EUlS16_E_NS1_11comp_targetILNS1_3genE0ELNS1_11target_archE4294967295ELNS1_3gpuE0ELNS1_3repE0EEENS1_30default_config_static_selectorELNS0_4arch9wavefront6targetE1EEEvT1_,"axG",@progbits,_ZN7rocprim17ROCPRIM_400000_NS6detail17trampoline_kernelINS0_14default_configENS1_25partition_config_selectorILNS1_17partition_subalgoE5EiNS0_10empty_typeEbEEZZNS1_14partition_implILS5_5ELb0ES3_mN6thrust23THRUST_200600_302600_NS17counting_iteratorIiNSA_11use_defaultESC_SC_EEPS6_NSA_18transform_iteratorINSA_8identityIiEENSA_6detail15normal_iteratorINSA_10device_ptrIiEEEESC_SC_EENS0_5tupleIJSM_S6_EEENSO_IJSE_SE_EEES6_PlJS6_EEE10hipError_tPvRmT3_T4_T5_T6_T7_T9_mT8_P12ihipStream_tbDpT10_ENKUlT_T0_E_clISt17integral_constantIbLb0EES1A_IbLb1EEEEDaS16_S17_EUlS16_E_NS1_11comp_targetILNS1_3genE0ELNS1_11target_archE4294967295ELNS1_3gpuE0ELNS1_3repE0EEENS1_30default_config_static_selectorELNS0_4arch9wavefront6targetE1EEEvT1_,comdat
.Lfunc_end37:
	.size	_ZN7rocprim17ROCPRIM_400000_NS6detail17trampoline_kernelINS0_14default_configENS1_25partition_config_selectorILNS1_17partition_subalgoE5EiNS0_10empty_typeEbEEZZNS1_14partition_implILS5_5ELb0ES3_mN6thrust23THRUST_200600_302600_NS17counting_iteratorIiNSA_11use_defaultESC_SC_EEPS6_NSA_18transform_iteratorINSA_8identityIiEENSA_6detail15normal_iteratorINSA_10device_ptrIiEEEESC_SC_EENS0_5tupleIJSM_S6_EEENSO_IJSE_SE_EEES6_PlJS6_EEE10hipError_tPvRmT3_T4_T5_T6_T7_T9_mT8_P12ihipStream_tbDpT10_ENKUlT_T0_E_clISt17integral_constantIbLb0EES1A_IbLb1EEEEDaS16_S17_EUlS16_E_NS1_11comp_targetILNS1_3genE0ELNS1_11target_archE4294967295ELNS1_3gpuE0ELNS1_3repE0EEENS1_30default_config_static_selectorELNS0_4arch9wavefront6targetE1EEEvT1_, .Lfunc_end37-_ZN7rocprim17ROCPRIM_400000_NS6detail17trampoline_kernelINS0_14default_configENS1_25partition_config_selectorILNS1_17partition_subalgoE5EiNS0_10empty_typeEbEEZZNS1_14partition_implILS5_5ELb0ES3_mN6thrust23THRUST_200600_302600_NS17counting_iteratorIiNSA_11use_defaultESC_SC_EEPS6_NSA_18transform_iteratorINSA_8identityIiEENSA_6detail15normal_iteratorINSA_10device_ptrIiEEEESC_SC_EENS0_5tupleIJSM_S6_EEENSO_IJSE_SE_EEES6_PlJS6_EEE10hipError_tPvRmT3_T4_T5_T6_T7_T9_mT8_P12ihipStream_tbDpT10_ENKUlT_T0_E_clISt17integral_constantIbLb0EES1A_IbLb1EEEEDaS16_S17_EUlS16_E_NS1_11comp_targetILNS1_3genE0ELNS1_11target_archE4294967295ELNS1_3gpuE0ELNS1_3repE0EEENS1_30default_config_static_selectorELNS0_4arch9wavefront6targetE1EEEvT1_
                                        ; -- End function
	.section	.AMDGPU.csdata,"",@progbits
; Kernel info:
; codeLenInByte = 0
; NumSgprs: 4
; NumVgprs: 0
; NumAgprs: 0
; TotalNumVgprs: 0
; ScratchSize: 0
; MemoryBound: 0
; FloatMode: 240
; IeeeMode: 1
; LDSByteSize: 0 bytes/workgroup (compile time only)
; SGPRBlocks: 0
; VGPRBlocks: 0
; NumSGPRsForWavesPerEU: 4
; NumVGPRsForWavesPerEU: 1
; AccumOffset: 4
; Occupancy: 8
; WaveLimiterHint : 0
; COMPUTE_PGM_RSRC2:SCRATCH_EN: 0
; COMPUTE_PGM_RSRC2:USER_SGPR: 6
; COMPUTE_PGM_RSRC2:TRAP_HANDLER: 0
; COMPUTE_PGM_RSRC2:TGID_X_EN: 1
; COMPUTE_PGM_RSRC2:TGID_Y_EN: 0
; COMPUTE_PGM_RSRC2:TGID_Z_EN: 0
; COMPUTE_PGM_RSRC2:TIDIG_COMP_CNT: 0
; COMPUTE_PGM_RSRC3_GFX90A:ACCUM_OFFSET: 0
; COMPUTE_PGM_RSRC3_GFX90A:TG_SPLIT: 0
	.section	.text._ZN7rocprim17ROCPRIM_400000_NS6detail17trampoline_kernelINS0_14default_configENS1_25partition_config_selectorILNS1_17partition_subalgoE5EiNS0_10empty_typeEbEEZZNS1_14partition_implILS5_5ELb0ES3_mN6thrust23THRUST_200600_302600_NS17counting_iteratorIiNSA_11use_defaultESC_SC_EEPS6_NSA_18transform_iteratorINSA_8identityIiEENSA_6detail15normal_iteratorINSA_10device_ptrIiEEEESC_SC_EENS0_5tupleIJSM_S6_EEENSO_IJSE_SE_EEES6_PlJS6_EEE10hipError_tPvRmT3_T4_T5_T6_T7_T9_mT8_P12ihipStream_tbDpT10_ENKUlT_T0_E_clISt17integral_constantIbLb0EES1A_IbLb1EEEEDaS16_S17_EUlS16_E_NS1_11comp_targetILNS1_3genE5ELNS1_11target_archE942ELNS1_3gpuE9ELNS1_3repE0EEENS1_30default_config_static_selectorELNS0_4arch9wavefront6targetE1EEEvT1_,"axG",@progbits,_ZN7rocprim17ROCPRIM_400000_NS6detail17trampoline_kernelINS0_14default_configENS1_25partition_config_selectorILNS1_17partition_subalgoE5EiNS0_10empty_typeEbEEZZNS1_14partition_implILS5_5ELb0ES3_mN6thrust23THRUST_200600_302600_NS17counting_iteratorIiNSA_11use_defaultESC_SC_EEPS6_NSA_18transform_iteratorINSA_8identityIiEENSA_6detail15normal_iteratorINSA_10device_ptrIiEEEESC_SC_EENS0_5tupleIJSM_S6_EEENSO_IJSE_SE_EEES6_PlJS6_EEE10hipError_tPvRmT3_T4_T5_T6_T7_T9_mT8_P12ihipStream_tbDpT10_ENKUlT_T0_E_clISt17integral_constantIbLb0EES1A_IbLb1EEEEDaS16_S17_EUlS16_E_NS1_11comp_targetILNS1_3genE5ELNS1_11target_archE942ELNS1_3gpuE9ELNS1_3repE0EEENS1_30default_config_static_selectorELNS0_4arch9wavefront6targetE1EEEvT1_,comdat
	.protected	_ZN7rocprim17ROCPRIM_400000_NS6detail17trampoline_kernelINS0_14default_configENS1_25partition_config_selectorILNS1_17partition_subalgoE5EiNS0_10empty_typeEbEEZZNS1_14partition_implILS5_5ELb0ES3_mN6thrust23THRUST_200600_302600_NS17counting_iteratorIiNSA_11use_defaultESC_SC_EEPS6_NSA_18transform_iteratorINSA_8identityIiEENSA_6detail15normal_iteratorINSA_10device_ptrIiEEEESC_SC_EENS0_5tupleIJSM_S6_EEENSO_IJSE_SE_EEES6_PlJS6_EEE10hipError_tPvRmT3_T4_T5_T6_T7_T9_mT8_P12ihipStream_tbDpT10_ENKUlT_T0_E_clISt17integral_constantIbLb0EES1A_IbLb1EEEEDaS16_S17_EUlS16_E_NS1_11comp_targetILNS1_3genE5ELNS1_11target_archE942ELNS1_3gpuE9ELNS1_3repE0EEENS1_30default_config_static_selectorELNS0_4arch9wavefront6targetE1EEEvT1_ ; -- Begin function _ZN7rocprim17ROCPRIM_400000_NS6detail17trampoline_kernelINS0_14default_configENS1_25partition_config_selectorILNS1_17partition_subalgoE5EiNS0_10empty_typeEbEEZZNS1_14partition_implILS5_5ELb0ES3_mN6thrust23THRUST_200600_302600_NS17counting_iteratorIiNSA_11use_defaultESC_SC_EEPS6_NSA_18transform_iteratorINSA_8identityIiEENSA_6detail15normal_iteratorINSA_10device_ptrIiEEEESC_SC_EENS0_5tupleIJSM_S6_EEENSO_IJSE_SE_EEES6_PlJS6_EEE10hipError_tPvRmT3_T4_T5_T6_T7_T9_mT8_P12ihipStream_tbDpT10_ENKUlT_T0_E_clISt17integral_constantIbLb0EES1A_IbLb1EEEEDaS16_S17_EUlS16_E_NS1_11comp_targetILNS1_3genE5ELNS1_11target_archE942ELNS1_3gpuE9ELNS1_3repE0EEENS1_30default_config_static_selectorELNS0_4arch9wavefront6targetE1EEEvT1_
	.globl	_ZN7rocprim17ROCPRIM_400000_NS6detail17trampoline_kernelINS0_14default_configENS1_25partition_config_selectorILNS1_17partition_subalgoE5EiNS0_10empty_typeEbEEZZNS1_14partition_implILS5_5ELb0ES3_mN6thrust23THRUST_200600_302600_NS17counting_iteratorIiNSA_11use_defaultESC_SC_EEPS6_NSA_18transform_iteratorINSA_8identityIiEENSA_6detail15normal_iteratorINSA_10device_ptrIiEEEESC_SC_EENS0_5tupleIJSM_S6_EEENSO_IJSE_SE_EEES6_PlJS6_EEE10hipError_tPvRmT3_T4_T5_T6_T7_T9_mT8_P12ihipStream_tbDpT10_ENKUlT_T0_E_clISt17integral_constantIbLb0EES1A_IbLb1EEEEDaS16_S17_EUlS16_E_NS1_11comp_targetILNS1_3genE5ELNS1_11target_archE942ELNS1_3gpuE9ELNS1_3repE0EEENS1_30default_config_static_selectorELNS0_4arch9wavefront6targetE1EEEvT1_
	.p2align	8
	.type	_ZN7rocprim17ROCPRIM_400000_NS6detail17trampoline_kernelINS0_14default_configENS1_25partition_config_selectorILNS1_17partition_subalgoE5EiNS0_10empty_typeEbEEZZNS1_14partition_implILS5_5ELb0ES3_mN6thrust23THRUST_200600_302600_NS17counting_iteratorIiNSA_11use_defaultESC_SC_EEPS6_NSA_18transform_iteratorINSA_8identityIiEENSA_6detail15normal_iteratorINSA_10device_ptrIiEEEESC_SC_EENS0_5tupleIJSM_S6_EEENSO_IJSE_SE_EEES6_PlJS6_EEE10hipError_tPvRmT3_T4_T5_T6_T7_T9_mT8_P12ihipStream_tbDpT10_ENKUlT_T0_E_clISt17integral_constantIbLb0EES1A_IbLb1EEEEDaS16_S17_EUlS16_E_NS1_11comp_targetILNS1_3genE5ELNS1_11target_archE942ELNS1_3gpuE9ELNS1_3repE0EEENS1_30default_config_static_selectorELNS0_4arch9wavefront6targetE1EEEvT1_,@function
_ZN7rocprim17ROCPRIM_400000_NS6detail17trampoline_kernelINS0_14default_configENS1_25partition_config_selectorILNS1_17partition_subalgoE5EiNS0_10empty_typeEbEEZZNS1_14partition_implILS5_5ELb0ES3_mN6thrust23THRUST_200600_302600_NS17counting_iteratorIiNSA_11use_defaultESC_SC_EEPS6_NSA_18transform_iteratorINSA_8identityIiEENSA_6detail15normal_iteratorINSA_10device_ptrIiEEEESC_SC_EENS0_5tupleIJSM_S6_EEENSO_IJSE_SE_EEES6_PlJS6_EEE10hipError_tPvRmT3_T4_T5_T6_T7_T9_mT8_P12ihipStream_tbDpT10_ENKUlT_T0_E_clISt17integral_constantIbLb0EES1A_IbLb1EEEEDaS16_S17_EUlS16_E_NS1_11comp_targetILNS1_3genE5ELNS1_11target_archE942ELNS1_3gpuE9ELNS1_3repE0EEENS1_30default_config_static_selectorELNS0_4arch9wavefront6targetE1EEEvT1_: ; @_ZN7rocprim17ROCPRIM_400000_NS6detail17trampoline_kernelINS0_14default_configENS1_25partition_config_selectorILNS1_17partition_subalgoE5EiNS0_10empty_typeEbEEZZNS1_14partition_implILS5_5ELb0ES3_mN6thrust23THRUST_200600_302600_NS17counting_iteratorIiNSA_11use_defaultESC_SC_EEPS6_NSA_18transform_iteratorINSA_8identityIiEENSA_6detail15normal_iteratorINSA_10device_ptrIiEEEESC_SC_EENS0_5tupleIJSM_S6_EEENSO_IJSE_SE_EEES6_PlJS6_EEE10hipError_tPvRmT3_T4_T5_T6_T7_T9_mT8_P12ihipStream_tbDpT10_ENKUlT_T0_E_clISt17integral_constantIbLb0EES1A_IbLb1EEEEDaS16_S17_EUlS16_E_NS1_11comp_targetILNS1_3genE5ELNS1_11target_archE942ELNS1_3gpuE9ELNS1_3repE0EEENS1_30default_config_static_selectorELNS0_4arch9wavefront6targetE1EEEvT1_
; %bb.0:
	.section	.rodata,"a",@progbits
	.p2align	6, 0x0
	.amdhsa_kernel _ZN7rocprim17ROCPRIM_400000_NS6detail17trampoline_kernelINS0_14default_configENS1_25partition_config_selectorILNS1_17partition_subalgoE5EiNS0_10empty_typeEbEEZZNS1_14partition_implILS5_5ELb0ES3_mN6thrust23THRUST_200600_302600_NS17counting_iteratorIiNSA_11use_defaultESC_SC_EEPS6_NSA_18transform_iteratorINSA_8identityIiEENSA_6detail15normal_iteratorINSA_10device_ptrIiEEEESC_SC_EENS0_5tupleIJSM_S6_EEENSO_IJSE_SE_EEES6_PlJS6_EEE10hipError_tPvRmT3_T4_T5_T6_T7_T9_mT8_P12ihipStream_tbDpT10_ENKUlT_T0_E_clISt17integral_constantIbLb0EES1A_IbLb1EEEEDaS16_S17_EUlS16_E_NS1_11comp_targetILNS1_3genE5ELNS1_11target_archE942ELNS1_3gpuE9ELNS1_3repE0EEENS1_30default_config_static_selectorELNS0_4arch9wavefront6targetE1EEEvT1_
		.amdhsa_group_segment_fixed_size 0
		.amdhsa_private_segment_fixed_size 0
		.amdhsa_kernarg_size 136
		.amdhsa_user_sgpr_count 6
		.amdhsa_user_sgpr_private_segment_buffer 1
		.amdhsa_user_sgpr_dispatch_ptr 0
		.amdhsa_user_sgpr_queue_ptr 0
		.amdhsa_user_sgpr_kernarg_segment_ptr 1
		.amdhsa_user_sgpr_dispatch_id 0
		.amdhsa_user_sgpr_flat_scratch_init 0
		.amdhsa_user_sgpr_kernarg_preload_length 0
		.amdhsa_user_sgpr_kernarg_preload_offset 0
		.amdhsa_user_sgpr_private_segment_size 0
		.amdhsa_uses_dynamic_stack 0
		.amdhsa_system_sgpr_private_segment_wavefront_offset 0
		.amdhsa_system_sgpr_workgroup_id_x 1
		.amdhsa_system_sgpr_workgroup_id_y 0
		.amdhsa_system_sgpr_workgroup_id_z 0
		.amdhsa_system_sgpr_workgroup_info 0
		.amdhsa_system_vgpr_workitem_id 0
		.amdhsa_next_free_vgpr 1
		.amdhsa_next_free_sgpr 0
		.amdhsa_accum_offset 4
		.amdhsa_reserve_vcc 0
		.amdhsa_reserve_flat_scratch 0
		.amdhsa_float_round_mode_32 0
		.amdhsa_float_round_mode_16_64 0
		.amdhsa_float_denorm_mode_32 3
		.amdhsa_float_denorm_mode_16_64 3
		.amdhsa_dx10_clamp 1
		.amdhsa_ieee_mode 1
		.amdhsa_fp16_overflow 0
		.amdhsa_tg_split 0
		.amdhsa_exception_fp_ieee_invalid_op 0
		.amdhsa_exception_fp_denorm_src 0
		.amdhsa_exception_fp_ieee_div_zero 0
		.amdhsa_exception_fp_ieee_overflow 0
		.amdhsa_exception_fp_ieee_underflow 0
		.amdhsa_exception_fp_ieee_inexact 0
		.amdhsa_exception_int_div_zero 0
	.end_amdhsa_kernel
	.section	.text._ZN7rocprim17ROCPRIM_400000_NS6detail17trampoline_kernelINS0_14default_configENS1_25partition_config_selectorILNS1_17partition_subalgoE5EiNS0_10empty_typeEbEEZZNS1_14partition_implILS5_5ELb0ES3_mN6thrust23THRUST_200600_302600_NS17counting_iteratorIiNSA_11use_defaultESC_SC_EEPS6_NSA_18transform_iteratorINSA_8identityIiEENSA_6detail15normal_iteratorINSA_10device_ptrIiEEEESC_SC_EENS0_5tupleIJSM_S6_EEENSO_IJSE_SE_EEES6_PlJS6_EEE10hipError_tPvRmT3_T4_T5_T6_T7_T9_mT8_P12ihipStream_tbDpT10_ENKUlT_T0_E_clISt17integral_constantIbLb0EES1A_IbLb1EEEEDaS16_S17_EUlS16_E_NS1_11comp_targetILNS1_3genE5ELNS1_11target_archE942ELNS1_3gpuE9ELNS1_3repE0EEENS1_30default_config_static_selectorELNS0_4arch9wavefront6targetE1EEEvT1_,"axG",@progbits,_ZN7rocprim17ROCPRIM_400000_NS6detail17trampoline_kernelINS0_14default_configENS1_25partition_config_selectorILNS1_17partition_subalgoE5EiNS0_10empty_typeEbEEZZNS1_14partition_implILS5_5ELb0ES3_mN6thrust23THRUST_200600_302600_NS17counting_iteratorIiNSA_11use_defaultESC_SC_EEPS6_NSA_18transform_iteratorINSA_8identityIiEENSA_6detail15normal_iteratorINSA_10device_ptrIiEEEESC_SC_EENS0_5tupleIJSM_S6_EEENSO_IJSE_SE_EEES6_PlJS6_EEE10hipError_tPvRmT3_T4_T5_T6_T7_T9_mT8_P12ihipStream_tbDpT10_ENKUlT_T0_E_clISt17integral_constantIbLb0EES1A_IbLb1EEEEDaS16_S17_EUlS16_E_NS1_11comp_targetILNS1_3genE5ELNS1_11target_archE942ELNS1_3gpuE9ELNS1_3repE0EEENS1_30default_config_static_selectorELNS0_4arch9wavefront6targetE1EEEvT1_,comdat
.Lfunc_end38:
	.size	_ZN7rocprim17ROCPRIM_400000_NS6detail17trampoline_kernelINS0_14default_configENS1_25partition_config_selectorILNS1_17partition_subalgoE5EiNS0_10empty_typeEbEEZZNS1_14partition_implILS5_5ELb0ES3_mN6thrust23THRUST_200600_302600_NS17counting_iteratorIiNSA_11use_defaultESC_SC_EEPS6_NSA_18transform_iteratorINSA_8identityIiEENSA_6detail15normal_iteratorINSA_10device_ptrIiEEEESC_SC_EENS0_5tupleIJSM_S6_EEENSO_IJSE_SE_EEES6_PlJS6_EEE10hipError_tPvRmT3_T4_T5_T6_T7_T9_mT8_P12ihipStream_tbDpT10_ENKUlT_T0_E_clISt17integral_constantIbLb0EES1A_IbLb1EEEEDaS16_S17_EUlS16_E_NS1_11comp_targetILNS1_3genE5ELNS1_11target_archE942ELNS1_3gpuE9ELNS1_3repE0EEENS1_30default_config_static_selectorELNS0_4arch9wavefront6targetE1EEEvT1_, .Lfunc_end38-_ZN7rocprim17ROCPRIM_400000_NS6detail17trampoline_kernelINS0_14default_configENS1_25partition_config_selectorILNS1_17partition_subalgoE5EiNS0_10empty_typeEbEEZZNS1_14partition_implILS5_5ELb0ES3_mN6thrust23THRUST_200600_302600_NS17counting_iteratorIiNSA_11use_defaultESC_SC_EEPS6_NSA_18transform_iteratorINSA_8identityIiEENSA_6detail15normal_iteratorINSA_10device_ptrIiEEEESC_SC_EENS0_5tupleIJSM_S6_EEENSO_IJSE_SE_EEES6_PlJS6_EEE10hipError_tPvRmT3_T4_T5_T6_T7_T9_mT8_P12ihipStream_tbDpT10_ENKUlT_T0_E_clISt17integral_constantIbLb0EES1A_IbLb1EEEEDaS16_S17_EUlS16_E_NS1_11comp_targetILNS1_3genE5ELNS1_11target_archE942ELNS1_3gpuE9ELNS1_3repE0EEENS1_30default_config_static_selectorELNS0_4arch9wavefront6targetE1EEEvT1_
                                        ; -- End function
	.section	.AMDGPU.csdata,"",@progbits
; Kernel info:
; codeLenInByte = 0
; NumSgprs: 4
; NumVgprs: 0
; NumAgprs: 0
; TotalNumVgprs: 0
; ScratchSize: 0
; MemoryBound: 0
; FloatMode: 240
; IeeeMode: 1
; LDSByteSize: 0 bytes/workgroup (compile time only)
; SGPRBlocks: 0
; VGPRBlocks: 0
; NumSGPRsForWavesPerEU: 4
; NumVGPRsForWavesPerEU: 1
; AccumOffset: 4
; Occupancy: 8
; WaveLimiterHint : 0
; COMPUTE_PGM_RSRC2:SCRATCH_EN: 0
; COMPUTE_PGM_RSRC2:USER_SGPR: 6
; COMPUTE_PGM_RSRC2:TRAP_HANDLER: 0
; COMPUTE_PGM_RSRC2:TGID_X_EN: 1
; COMPUTE_PGM_RSRC2:TGID_Y_EN: 0
; COMPUTE_PGM_RSRC2:TGID_Z_EN: 0
; COMPUTE_PGM_RSRC2:TIDIG_COMP_CNT: 0
; COMPUTE_PGM_RSRC3_GFX90A:ACCUM_OFFSET: 0
; COMPUTE_PGM_RSRC3_GFX90A:TG_SPLIT: 0
	.section	.text._ZN7rocprim17ROCPRIM_400000_NS6detail17trampoline_kernelINS0_14default_configENS1_25partition_config_selectorILNS1_17partition_subalgoE5EiNS0_10empty_typeEbEEZZNS1_14partition_implILS5_5ELb0ES3_mN6thrust23THRUST_200600_302600_NS17counting_iteratorIiNSA_11use_defaultESC_SC_EEPS6_NSA_18transform_iteratorINSA_8identityIiEENSA_6detail15normal_iteratorINSA_10device_ptrIiEEEESC_SC_EENS0_5tupleIJSM_S6_EEENSO_IJSE_SE_EEES6_PlJS6_EEE10hipError_tPvRmT3_T4_T5_T6_T7_T9_mT8_P12ihipStream_tbDpT10_ENKUlT_T0_E_clISt17integral_constantIbLb0EES1A_IbLb1EEEEDaS16_S17_EUlS16_E_NS1_11comp_targetILNS1_3genE4ELNS1_11target_archE910ELNS1_3gpuE8ELNS1_3repE0EEENS1_30default_config_static_selectorELNS0_4arch9wavefront6targetE1EEEvT1_,"axG",@progbits,_ZN7rocprim17ROCPRIM_400000_NS6detail17trampoline_kernelINS0_14default_configENS1_25partition_config_selectorILNS1_17partition_subalgoE5EiNS0_10empty_typeEbEEZZNS1_14partition_implILS5_5ELb0ES3_mN6thrust23THRUST_200600_302600_NS17counting_iteratorIiNSA_11use_defaultESC_SC_EEPS6_NSA_18transform_iteratorINSA_8identityIiEENSA_6detail15normal_iteratorINSA_10device_ptrIiEEEESC_SC_EENS0_5tupleIJSM_S6_EEENSO_IJSE_SE_EEES6_PlJS6_EEE10hipError_tPvRmT3_T4_T5_T6_T7_T9_mT8_P12ihipStream_tbDpT10_ENKUlT_T0_E_clISt17integral_constantIbLb0EES1A_IbLb1EEEEDaS16_S17_EUlS16_E_NS1_11comp_targetILNS1_3genE4ELNS1_11target_archE910ELNS1_3gpuE8ELNS1_3repE0EEENS1_30default_config_static_selectorELNS0_4arch9wavefront6targetE1EEEvT1_,comdat
	.protected	_ZN7rocprim17ROCPRIM_400000_NS6detail17trampoline_kernelINS0_14default_configENS1_25partition_config_selectorILNS1_17partition_subalgoE5EiNS0_10empty_typeEbEEZZNS1_14partition_implILS5_5ELb0ES3_mN6thrust23THRUST_200600_302600_NS17counting_iteratorIiNSA_11use_defaultESC_SC_EEPS6_NSA_18transform_iteratorINSA_8identityIiEENSA_6detail15normal_iteratorINSA_10device_ptrIiEEEESC_SC_EENS0_5tupleIJSM_S6_EEENSO_IJSE_SE_EEES6_PlJS6_EEE10hipError_tPvRmT3_T4_T5_T6_T7_T9_mT8_P12ihipStream_tbDpT10_ENKUlT_T0_E_clISt17integral_constantIbLb0EES1A_IbLb1EEEEDaS16_S17_EUlS16_E_NS1_11comp_targetILNS1_3genE4ELNS1_11target_archE910ELNS1_3gpuE8ELNS1_3repE0EEENS1_30default_config_static_selectorELNS0_4arch9wavefront6targetE1EEEvT1_ ; -- Begin function _ZN7rocprim17ROCPRIM_400000_NS6detail17trampoline_kernelINS0_14default_configENS1_25partition_config_selectorILNS1_17partition_subalgoE5EiNS0_10empty_typeEbEEZZNS1_14partition_implILS5_5ELb0ES3_mN6thrust23THRUST_200600_302600_NS17counting_iteratorIiNSA_11use_defaultESC_SC_EEPS6_NSA_18transform_iteratorINSA_8identityIiEENSA_6detail15normal_iteratorINSA_10device_ptrIiEEEESC_SC_EENS0_5tupleIJSM_S6_EEENSO_IJSE_SE_EEES6_PlJS6_EEE10hipError_tPvRmT3_T4_T5_T6_T7_T9_mT8_P12ihipStream_tbDpT10_ENKUlT_T0_E_clISt17integral_constantIbLb0EES1A_IbLb1EEEEDaS16_S17_EUlS16_E_NS1_11comp_targetILNS1_3genE4ELNS1_11target_archE910ELNS1_3gpuE8ELNS1_3repE0EEENS1_30default_config_static_selectorELNS0_4arch9wavefront6targetE1EEEvT1_
	.globl	_ZN7rocprim17ROCPRIM_400000_NS6detail17trampoline_kernelINS0_14default_configENS1_25partition_config_selectorILNS1_17partition_subalgoE5EiNS0_10empty_typeEbEEZZNS1_14partition_implILS5_5ELb0ES3_mN6thrust23THRUST_200600_302600_NS17counting_iteratorIiNSA_11use_defaultESC_SC_EEPS6_NSA_18transform_iteratorINSA_8identityIiEENSA_6detail15normal_iteratorINSA_10device_ptrIiEEEESC_SC_EENS0_5tupleIJSM_S6_EEENSO_IJSE_SE_EEES6_PlJS6_EEE10hipError_tPvRmT3_T4_T5_T6_T7_T9_mT8_P12ihipStream_tbDpT10_ENKUlT_T0_E_clISt17integral_constantIbLb0EES1A_IbLb1EEEEDaS16_S17_EUlS16_E_NS1_11comp_targetILNS1_3genE4ELNS1_11target_archE910ELNS1_3gpuE8ELNS1_3repE0EEENS1_30default_config_static_selectorELNS0_4arch9wavefront6targetE1EEEvT1_
	.p2align	8
	.type	_ZN7rocprim17ROCPRIM_400000_NS6detail17trampoline_kernelINS0_14default_configENS1_25partition_config_selectorILNS1_17partition_subalgoE5EiNS0_10empty_typeEbEEZZNS1_14partition_implILS5_5ELb0ES3_mN6thrust23THRUST_200600_302600_NS17counting_iteratorIiNSA_11use_defaultESC_SC_EEPS6_NSA_18transform_iteratorINSA_8identityIiEENSA_6detail15normal_iteratorINSA_10device_ptrIiEEEESC_SC_EENS0_5tupleIJSM_S6_EEENSO_IJSE_SE_EEES6_PlJS6_EEE10hipError_tPvRmT3_T4_T5_T6_T7_T9_mT8_P12ihipStream_tbDpT10_ENKUlT_T0_E_clISt17integral_constantIbLb0EES1A_IbLb1EEEEDaS16_S17_EUlS16_E_NS1_11comp_targetILNS1_3genE4ELNS1_11target_archE910ELNS1_3gpuE8ELNS1_3repE0EEENS1_30default_config_static_selectorELNS0_4arch9wavefront6targetE1EEEvT1_,@function
_ZN7rocprim17ROCPRIM_400000_NS6detail17trampoline_kernelINS0_14default_configENS1_25partition_config_selectorILNS1_17partition_subalgoE5EiNS0_10empty_typeEbEEZZNS1_14partition_implILS5_5ELb0ES3_mN6thrust23THRUST_200600_302600_NS17counting_iteratorIiNSA_11use_defaultESC_SC_EEPS6_NSA_18transform_iteratorINSA_8identityIiEENSA_6detail15normal_iteratorINSA_10device_ptrIiEEEESC_SC_EENS0_5tupleIJSM_S6_EEENSO_IJSE_SE_EEES6_PlJS6_EEE10hipError_tPvRmT3_T4_T5_T6_T7_T9_mT8_P12ihipStream_tbDpT10_ENKUlT_T0_E_clISt17integral_constantIbLb0EES1A_IbLb1EEEEDaS16_S17_EUlS16_E_NS1_11comp_targetILNS1_3genE4ELNS1_11target_archE910ELNS1_3gpuE8ELNS1_3repE0EEENS1_30default_config_static_selectorELNS0_4arch9wavefront6targetE1EEEvT1_: ; @_ZN7rocprim17ROCPRIM_400000_NS6detail17trampoline_kernelINS0_14default_configENS1_25partition_config_selectorILNS1_17partition_subalgoE5EiNS0_10empty_typeEbEEZZNS1_14partition_implILS5_5ELb0ES3_mN6thrust23THRUST_200600_302600_NS17counting_iteratorIiNSA_11use_defaultESC_SC_EEPS6_NSA_18transform_iteratorINSA_8identityIiEENSA_6detail15normal_iteratorINSA_10device_ptrIiEEEESC_SC_EENS0_5tupleIJSM_S6_EEENSO_IJSE_SE_EEES6_PlJS6_EEE10hipError_tPvRmT3_T4_T5_T6_T7_T9_mT8_P12ihipStream_tbDpT10_ENKUlT_T0_E_clISt17integral_constantIbLb0EES1A_IbLb1EEEEDaS16_S17_EUlS16_E_NS1_11comp_targetILNS1_3genE4ELNS1_11target_archE910ELNS1_3gpuE8ELNS1_3repE0EEENS1_30default_config_static_selectorELNS0_4arch9wavefront6targetE1EEEvT1_
; %bb.0:
	s_load_dwordx2 s[2:3], s[4:5], 0x10
	s_load_dwordx2 s[8:9], s[4:5], 0x20
	;; [unrolled: 1-line block ×4, first 2 shown]
	s_load_dwordx4 s[16:19], s[4:5], 0x48
	s_load_dwordx2 s[22:23], s[4:5], 0x68
	v_cmp_eq_u32_e64 s[0:1], 0, v0
	s_and_saveexec_b64 s[10:11], s[0:1]
	s_cbranch_execz .LBB39_4
; %bb.1:
	s_mov_b64 s[20:21], exec
	v_mbcnt_lo_u32_b32 v1, s20, 0
	v_mbcnt_hi_u32_b32 v1, s21, v1
	v_cmp_eq_u32_e32 vcc, 0, v1
                                        ; implicit-def: $vgpr2
	s_and_saveexec_b64 s[12:13], vcc
	s_cbranch_execz .LBB39_3
; %bb.2:
	s_load_dwordx2 s[24:25], s[4:5], 0x78
	s_bcnt1_i32_b64 s20, s[20:21]
	v_mov_b32_e32 v2, 0
	v_mov_b32_e32 v3, s20
	s_waitcnt lgkmcnt(0)
	global_atomic_add v2, v2, v3, s[24:25] glc
.LBB39_3:
	s_or_b64 exec, exec, s[12:13]
	s_waitcnt vmcnt(0)
	v_readfirstlane_b32 s12, v2
	v_add_u32_e32 v1, s12, v1
	v_mov_b32_e32 v2, 0
	ds_write_b32 v2, v1
.LBB39_4:
	s_or_b64 exec, exec, s[10:11]
	v_mov_b32_e32 v1, 0
	s_load_dword s11, s[4:5], 0x8
	s_load_dword s10, s[4:5], 0x70
	s_waitcnt lgkmcnt(0)
	s_barrier
	ds_read_b32 v4, v1
	s_waitcnt lgkmcnt(0)
	s_barrier
	global_load_dwordx2 v[12:13], v1, s[18:19]
	v_mov_b32_e32 v3, s7
	s_add_i32 s5, s11, s2
	s_add_i32 s12, s10, -1
	s_mul_i32 s7, s10, 0x700
	s_add_u32 s10, s2, s7
	v_readfirstlane_b32 s24, v4
	s_addc_u32 s11, s3, 0
	v_mov_b32_e32 v2, s6
	s_cmp_eq_u32 s24, s12
	v_cmp_ge_u64_e32 vcc, s[10:11], v[2:3]
	s_cselect_b64 s[18:19], -1, 0
	s_and_b64 s[12:13], vcc, s[18:19]
	s_xor_b64 s[20:21], s[12:13], -1
	s_mul_i32 s4, s24, 0x700
	s_mov_b64 s[10:11], -1
	s_and_b64 vcc, exec, s[20:21]
	v_lshlrev_b32_e32 v2, 2, v0
	s_cbranch_vccz .LBB39_6
; %bb.5:
	s_add_i32 s10, s4, s5
	v_add_u32_e32 v1, s10, v0
	v_add_u32_e32 v3, 0x100, v1
	v_add_u32_e32 v4, 0x200, v1
	v_add_u32_e32 v5, 0x300, v1
	v_add_u32_e32 v6, 0x400, v1
	v_add_u32_e32 v7, 0x500, v1
	v_add_u32_e32 v8, 0x600, v1
	ds_write2st64_b32 v2, v1, v3 offset1:4
	ds_write2st64_b32 v2, v4, v5 offset0:8 offset1:12
	ds_write2st64_b32 v2, v6, v7 offset0:16 offset1:20
	ds_write_b32 v2, v8 offset:6144
	s_waitcnt lgkmcnt(0)
	s_barrier
	s_mov_b64 s[10:11], 0
.LBB39_6:
	s_andn2_b64 vcc, exec, s[10:11]
	s_cbranch_vccnz .LBB39_8
; %bb.7:
	s_add_i32 s5, s4, s5
	v_add_u32_e32 v1, s5, v0
	v_add_u32_e32 v3, 0x100, v1
	;; [unrolled: 1-line block ×7, first 2 shown]
	ds_write2st64_b32 v2, v1, v3 offset1:4
	ds_write2st64_b32 v2, v4, v5 offset0:8 offset1:12
	ds_write2st64_b32 v2, v6, v7 offset0:16 offset1:20
	ds_write_b32 v2, v8 offset:6144
	s_waitcnt lgkmcnt(0)
	s_barrier
.LBB39_8:
	v_mul_u32_u24_e32 v1, 7, v0
	v_lshlrev_b32_e32 v1, 2, v1
	ds_read2_b32 v[16:17], v1 offset1:1
	ds_read2_b32 v[14:15], v1 offset0:2 offset1:3
	ds_read2_b32 v[10:11], v1 offset0:4 offset1:5
	ds_read_b32 v19, v1 offset:24
	s_lshl_b64 s[10:11], s[2:3], 2
	s_add_u32 s3, s8, s10
	s_mov_b32 s5, 0
	s_addc_u32 s8, s9, s11
	s_lshl_b64 s[4:5], s[4:5], 2
	s_add_u32 s4, s3, s4
	s_addc_u32 s5, s8, s5
	s_mov_b64 s[8:9], -1
	s_and_b64 vcc, exec, s[20:21]
	s_waitcnt lgkmcnt(0)
	s_barrier
	s_cbranch_vccz .LBB39_10
; %bb.9:
	global_load_dword v6, v2, s[4:5]
	global_load_dword v7, v2, s[4:5] offset:1024
	v_mov_b32_e32 v3, s5
	v_add_co_u32_e32 v4, vcc, s4, v2
	v_addc_co_u32_e32 v3, vcc, 0, v3, vcc
	global_load_dword v8, v2, s[4:5] offset:2048
	global_load_dword v9, v2, s[4:5] offset:3072
	s_movk_i32 s3, 0x1000
	v_add_co_u32_e32 v4, vcc, s3, v4
	v_addc_co_u32_e32 v5, vcc, 0, v3, vcc
	global_load_dword v3, v[4:5], off
	global_load_dword v18, v[4:5], off offset:1024
	global_load_dword v20, v[4:5], off offset:2048
	s_mov_b64 s[8:9], 0
	s_waitcnt vmcnt(6)
	v_cmp_ne_u32_e32 vcc, 0, v6
	v_cndmask_b32_e64 v4, 0, 1, vcc
	s_waitcnt vmcnt(5)
	v_cmp_ne_u32_e32 vcc, 0, v7
	v_cndmask_b32_e64 v5, 0, 1, vcc
	;; [unrolled: 3-line block ×4, first 2 shown]
	ds_write_b8 v0, v4
	ds_write_b8 v0, v5 offset:256
	ds_write_b8 v0, v6 offset:512
	;; [unrolled: 1-line block ×3, first 2 shown]
	s_waitcnt vmcnt(2)
	v_cmp_ne_u32_e32 vcc, 0, v3
	v_cndmask_b32_e64 v3, 0, 1, vcc
	s_waitcnt vmcnt(1)
	v_cmp_ne_u32_e32 vcc, 0, v18
	v_cndmask_b32_e64 v4, 0, 1, vcc
	;; [unrolled: 3-line block ×3, first 2 shown]
	ds_write_b8 v0, v3 offset:1024
	ds_write_b8 v0, v4 offset:1280
	;; [unrolled: 1-line block ×3, first 2 shown]
	s_waitcnt lgkmcnt(0)
	s_barrier
.LBB39_10:
	s_andn2_b64 vcc, exec, s[8:9]
	s_cbranch_vccnz .LBB39_26
; %bb.11:
	s_add_i32 s7, s7, s2
	s_sub_i32 s6, s6, s7
	s_addk_i32 s6, 0x700
	v_cmp_gt_u32_e32 vcc, s6, v0
	v_mov_b32_e32 v3, 0
	v_mov_b32_e32 v4, 0
	s_and_saveexec_b64 s[2:3], vcc
	s_cbranch_execz .LBB39_13
; %bb.12:
	global_load_dword v4, v2, s[4:5]
	s_waitcnt vmcnt(0)
	v_cmp_ne_u32_e32 vcc, 0, v4
	v_cndmask_b32_e64 v4, 0, 1, vcc
.LBB39_13:
	s_or_b64 exec, exec, s[2:3]
	v_or_b32_e32 v5, 0x100, v0
	v_cmp_gt_u32_e32 vcc, s6, v5
	s_and_saveexec_b64 s[2:3], vcc
	s_cbranch_execz .LBB39_15
; %bb.14:
	global_load_dword v3, v2, s[4:5] offset:1024
	s_waitcnt vmcnt(0)
	v_cmp_ne_u32_e32 vcc, 0, v3
	v_cndmask_b32_e64 v3, 0, 1, vcc
.LBB39_15:
	s_or_b64 exec, exec, s[2:3]
	v_or_b32_e32 v5, 0x200, v0
	v_cmp_gt_u32_e32 vcc, s6, v5
	v_mov_b32_e32 v5, 0
	v_mov_b32_e32 v6, 0
	s_and_saveexec_b64 s[2:3], vcc
	s_cbranch_execz .LBB39_17
; %bb.16:
	global_load_dword v6, v2, s[4:5] offset:2048
	s_waitcnt vmcnt(0)
	v_cmp_ne_u32_e32 vcc, 0, v6
	v_cndmask_b32_e64 v6, 0, 1, vcc
.LBB39_17:
	s_or_b64 exec, exec, s[2:3]
	v_or_b32_e32 v7, 0x300, v0
	v_cmp_gt_u32_e32 vcc, s6, v7
	s_and_saveexec_b64 s[2:3], vcc
	s_cbranch_execz .LBB39_19
; %bb.18:
	global_load_dword v2, v2, s[4:5] offset:3072
	s_waitcnt vmcnt(0)
	v_cmp_ne_u32_e32 vcc, 0, v2
	v_cndmask_b32_e64 v5, 0, 1, vcc
.LBB39_19:
	s_or_b64 exec, exec, s[2:3]
	v_or_b32_e32 v8, 0x400, v0
	v_cmp_gt_u32_e32 vcc, s6, v8
	v_mov_b32_e32 v2, 0
	v_mov_b32_e32 v7, 0
	s_and_saveexec_b64 s[2:3], vcc
	s_cbranch_execz .LBB39_21
; %bb.20:
	v_lshlrev_b32_e32 v7, 2, v8
	global_load_dword v7, v7, s[4:5]
	s_waitcnt vmcnt(0)
	v_cmp_ne_u32_e32 vcc, 0, v7
	v_cndmask_b32_e64 v7, 0, 1, vcc
.LBB39_21:
	s_or_b64 exec, exec, s[2:3]
	v_or_b32_e32 v8, 0x500, v0
	v_cmp_gt_u32_e32 vcc, s6, v8
	s_and_saveexec_b64 s[2:3], vcc
	s_cbranch_execz .LBB39_23
; %bb.22:
	v_lshlrev_b32_e32 v2, 2, v8
	global_load_dword v2, v2, s[4:5]
	s_waitcnt vmcnt(0)
	v_cmp_ne_u32_e32 vcc, 0, v2
	v_cndmask_b32_e64 v2, 0, 1, vcc
.LBB39_23:
	s_or_b64 exec, exec, s[2:3]
	v_or_b32_e32 v9, 0x600, v0
	v_cmp_gt_u32_e32 vcc, s6, v9
	v_mov_b32_e32 v8, 0
	s_and_saveexec_b64 s[2:3], vcc
	s_cbranch_execz .LBB39_25
; %bb.24:
	v_lshlrev_b32_e32 v8, 2, v9
	global_load_dword v8, v8, s[4:5]
	s_waitcnt vmcnt(0)
	v_cmp_ne_u32_e32 vcc, 0, v8
	v_cndmask_b32_e64 v8, 0, 1, vcc
.LBB39_25:
	s_or_b64 exec, exec, s[2:3]
	ds_write_b8 v0, v4
	ds_write_b8 v0, v3 offset:256
	ds_write_b8 v0, v6 offset:512
	;; [unrolled: 1-line block ×6, first 2 shown]
	s_waitcnt lgkmcnt(0)
	s_barrier
.LBB39_26:
	s_movk_i32 s2, 0xffeb
	v_mad_i32_i24 v25, v0, s2, v1
	ds_read_u8 v1, v25
	ds_read_u8 v2, v25 offset:1
	ds_read_u8 v3, v25 offset:2
	;; [unrolled: 1-line block ×6, first 2 shown]
	s_waitcnt lgkmcnt(6)
	v_and_b32_e32 v28, 1, v1
	s_waitcnt lgkmcnt(5)
	v_and_b32_e32 v26, 1, v2
	;; [unrolled: 2-line block ×3, first 2 shown]
	v_add_co_u32_e32 v2, vcc, v26, v28
	v_addc_co_u32_e64 v3, s[2:3], 0, 0, vcc
	v_add_co_u32_e32 v2, vcc, v2, v24
	s_waitcnt lgkmcnt(3)
	v_and_b32_e32 v22, 1, v4
	v_addc_co_u32_e32 v3, vcc, 0, v3, vcc
	v_add_co_u32_e32 v2, vcc, v2, v22
	s_waitcnt lgkmcnt(2)
	v_and_b32_e32 v20, 1, v5
	v_addc_co_u32_e32 v3, vcc, 0, v3, vcc
	;; [unrolled: 4-line block ×4, first 2 shown]
	v_add_co_u32_e32 v30, vcc, v2, v21
	v_mbcnt_lo_u32_b32 v2, -1, 0
	v_mbcnt_hi_u32_b32 v23, -1, v2
	v_addc_co_u32_e32 v31, vcc, 0, v3, vcc
	v_and_b32_e32 v29, 15, v23
	s_cmp_lg_u32 s24, 0
	v_mov_b32_e32 v1, 0
	v_cmp_eq_u32_e64 s[4:5], 0, v29
	v_cmp_lt_u32_e64 s[2:3], 1, v29
	v_cmp_lt_u32_e64 s[10:11], 3, v29
	;; [unrolled: 1-line block ×3, first 2 shown]
	v_and_b32_e32 v27, 16, v23
	v_cmp_eq_u32_e64 s[6:7], 0, v23
	v_cmp_ne_u32_e32 vcc, 0, v23
	s_barrier
	s_cbranch_scc0 .LBB39_55
; %bb.27:
	v_mov_b32_dpp v2, v30 row_shr:1 row_mask:0xf bank_mask:0xf
	v_add_co_u32_e64 v2, s[12:13], v30, v2
	v_addc_co_u32_e64 v3, s[12:13], 0, v31, s[12:13]
	v_mov_b32_dpp v1, v1 row_shr:1 row_mask:0xf bank_mask:0xf
	v_add_co_u32_e64 v4, s[12:13], 0, v2
	v_addc_co_u32_e64 v1, s[12:13], v1, v3, s[12:13]
	v_cndmask_b32_e64 v2, v2, v30, s[4:5]
	v_cndmask_b32_e64 v3, v1, 0, s[4:5]
	v_cndmask_b32_e64 v4, v4, v30, s[4:5]
	v_mov_b32_dpp v5, v2 row_shr:2 row_mask:0xf bank_mask:0xf
	v_cndmask_b32_e64 v1, v1, v31, s[4:5]
	v_mov_b32_dpp v6, v3 row_shr:2 row_mask:0xf bank_mask:0xf
	v_add_co_u32_e64 v5, s[12:13], v5, v4
	v_addc_co_u32_e64 v6, s[12:13], v6, v1, s[12:13]
	v_cndmask_b32_e64 v2, v2, v5, s[2:3]
	v_cndmask_b32_e64 v3, v3, v6, s[2:3]
	v_cndmask_b32_e64 v4, v4, v5, s[2:3]
	v_mov_b32_dpp v5, v2 row_shr:4 row_mask:0xf bank_mask:0xf
	v_cndmask_b32_e64 v1, v1, v6, s[2:3]
	;; [unrolled: 8-line block ×3, first 2 shown]
	v_mov_b32_dpp v6, v3 row_shr:8 row_mask:0xf bank_mask:0xf
	v_add_co_u32_e64 v5, s[10:11], v5, v4
	v_addc_co_u32_e64 v6, s[10:11], v6, v1, s[10:11]
	v_cndmask_b32_e64 v2, v2, v5, s[8:9]
	v_cndmask_b32_e64 v3, v3, v6, s[8:9]
	;; [unrolled: 1-line block ×3, first 2 shown]
	v_mov_b32_dpp v5, v2 row_bcast:15 row_mask:0xf bank_mask:0xf
	v_cndmask_b32_e64 v1, v1, v6, s[8:9]
	v_mov_b32_dpp v6, v3 row_bcast:15 row_mask:0xf bank_mask:0xf
	v_add_co_u32_e64 v5, s[8:9], v5, v4
	v_addc_co_u32_e64 v7, s[8:9], v6, v1, s[8:9]
	v_cmp_eq_u32_e64 s[8:9], 0, v27
	v_cndmask_b32_e64 v3, v7, v3, s[8:9]
	v_cndmask_b32_e64 v2, v5, v2, s[8:9]
	s_nop 0
	v_mov_b32_dpp v8, v3 row_bcast:31 row_mask:0xf bank_mask:0xf
	v_mov_b32_dpp v6, v2 row_bcast:31 row_mask:0xf bank_mask:0xf
	v_pk_mov_b32 v[2:3], v[30:31], v[30:31] op_sel:[0,1]
	s_and_saveexec_b64 s[10:11], vcc
; %bb.28:
	v_cmp_lt_u32_e32 vcc, 31, v23
	v_cndmask_b32_e64 v2, v5, v4, s[8:9]
	v_cndmask_b32_e32 v4, 0, v6, vcc
	v_cndmask_b32_e64 v1, v7, v1, s[8:9]
	v_cndmask_b32_e32 v3, 0, v8, vcc
	v_add_co_u32_e32 v2, vcc, v4, v2
	v_addc_co_u32_e32 v3, vcc, v3, v1, vcc
; %bb.29:
	s_or_b64 exec, exec, s[10:11]
	v_or_b32_e32 v4, 63, v0
	v_lshrrev_b32_e32 v1, 6, v0
	v_cmp_eq_u32_e32 vcc, v4, v0
	s_and_saveexec_b64 s[8:9], vcc
	s_cbranch_execz .LBB39_31
; %bb.30:
	v_lshlrev_b32_e32 v4, 3, v1
	ds_write_b64 v4, v[2:3]
.LBB39_31:
	s_or_b64 exec, exec, s[8:9]
	v_cmp_gt_u32_e32 vcc, 4, v0
	s_waitcnt lgkmcnt(0)
	s_barrier
	s_and_saveexec_b64 s[10:11], vcc
	s_cbranch_execz .LBB39_33
; %bb.32:
	v_lshlrev_b32_e32 v6, 3, v0
	ds_read_b64 v[4:5], v6
	v_and_b32_e32 v7, 3, v23
	v_cmp_ne_u32_e64 s[8:9], 1, v7
	s_waitcnt lgkmcnt(0)
	v_mov_b32_dpp v8, v4 row_shr:1 row_mask:0xf bank_mask:0xf
	v_add_co_u32_e32 v8, vcc, v4, v8
	v_addc_co_u32_e32 v32, vcc, 0, v5, vcc
	v_mov_b32_dpp v9, v5 row_shr:1 row_mask:0xf bank_mask:0xf
	v_add_co_u32_e32 v33, vcc, 0, v8
	v_addc_co_u32_e32 v9, vcc, v9, v32, vcc
	v_cmp_eq_u32_e32 vcc, 0, v7
	v_cndmask_b32_e32 v8, v8, v4, vcc
	v_cndmask_b32_e32 v32, v9, v5, vcc
	s_nop 0
	v_mov_b32_dpp v8, v8 row_shr:2 row_mask:0xf bank_mask:0xf
	v_mov_b32_dpp v32, v32 row_shr:2 row_mask:0xf bank_mask:0xf
	v_cndmask_b32_e64 v7, 0, v8, s[8:9]
	v_cndmask_b32_e64 v8, 0, v32, s[8:9]
	v_add_co_u32_e64 v7, s[8:9], v7, v33
	v_addc_co_u32_e64 v8, s[8:9], v8, v9, s[8:9]
	v_cndmask_b32_e32 v5, v8, v5, vcc
	v_cndmask_b32_e32 v4, v7, v4, vcc
	ds_write_b64 v6, v[4:5]
.LBB39_33:
	s_or_b64 exec, exec, s[10:11]
	v_cmp_gt_u32_e32 vcc, 64, v0
	v_cmp_lt_u32_e64 s[8:9], 63, v0
	s_waitcnt lgkmcnt(0)
	s_barrier
	s_waitcnt lgkmcnt(0)
                                        ; implicit-def: $vgpr32_vgpr33
	s_and_saveexec_b64 s[10:11], s[8:9]
	s_cbranch_execz .LBB39_35
; %bb.34:
	v_lshl_add_u32 v1, v1, 3, -8
	ds_read_b64 v[32:33], v1
	s_waitcnt lgkmcnt(0)
	v_add_co_u32_e64 v2, s[8:9], v32, v2
	v_addc_co_u32_e64 v3, s[8:9], v33, v3, s[8:9]
.LBB39_35:
	s_or_b64 exec, exec, s[10:11]
	v_add_u32_e32 v1, -1, v23
	v_and_b32_e32 v4, 64, v23
	v_cmp_lt_i32_e64 s[8:9], v1, v4
	v_cndmask_b32_e64 v1, v1, v23, s[8:9]
	v_lshlrev_b32_e32 v1, 2, v1
	ds_bpermute_b32 v40, v1, v2
	ds_bpermute_b32 v1, v1, v3
	s_and_saveexec_b64 s[12:13], vcc
	s_cbranch_execz .LBB39_54
; %bb.36:
	v_mov_b32_e32 v5, 0
	ds_read_b64 v[2:3], v5 offset:24
	s_and_saveexec_b64 s[8:9], s[6:7]
	s_cbranch_execz .LBB39_38
; %bb.37:
	s_add_i32 s10, s24, 64
	s_mov_b32 s11, 0
	s_lshl_b64 s[10:11], s[10:11], 4
	s_add_u32 s10, s22, s10
	s_addc_u32 s11, s23, s11
	v_mov_b32_e32 v4, 1
	v_pk_mov_b32 v[6:7], s[10:11], s[10:11] op_sel:[0,1]
	s_waitcnt lgkmcnt(0)
	;;#ASMSTART
	global_store_dwordx4 v[6:7], v[2:5] off	
s_waitcnt vmcnt(0)
	;;#ASMEND
.LBB39_38:
	s_or_b64 exec, exec, s[8:9]
	v_xad_u32 v34, v23, -1, s24
	v_add_u32_e32 v4, 64, v34
	v_lshlrev_b64 v[6:7], 4, v[4:5]
	v_mov_b32_e32 v4, s23
	v_add_co_u32_e32 v36, vcc, s22, v6
	v_addc_co_u32_e32 v37, vcc, v4, v7, vcc
	;;#ASMSTART
	global_load_dwordx4 v[6:9], v[36:37] off glc	
s_waitcnt vmcnt(0)
	;;#ASMEND
	v_and_b32_e32 v4, 0xff, v7
	v_and_b32_e32 v9, 0xff00, v7
	;; [unrolled: 1-line block ×3, first 2 shown]
	v_or3_b32 v4, 0, v4, v9
	v_or3_b32 v6, v6, 0, 0
	v_and_b32_e32 v7, 0xff000000, v7
	v_or3_b32 v7, v4, v35, v7
	v_or3_b32 v6, v6, 0, 0
	v_cmp_eq_u16_sdwa s[10:11], v8, v5 src0_sel:BYTE_0 src1_sel:DWORD
	s_and_saveexec_b64 s[8:9], s[10:11]
	s_cbranch_execz .LBB39_42
; %bb.39:
	s_mov_b64 s[10:11], 0
	v_mov_b32_e32 v4, 0
.LBB39_40:                              ; =>This Inner Loop Header: Depth=1
	;;#ASMSTART
	global_load_dwordx4 v[6:9], v[36:37] off glc	
s_waitcnt vmcnt(0)
	;;#ASMEND
	v_cmp_ne_u16_sdwa s[26:27], v8, v4 src0_sel:BYTE_0 src1_sel:DWORD
	s_or_b64 s[10:11], s[26:27], s[10:11]
	s_andn2_b64 exec, exec, s[10:11]
	s_cbranch_execnz .LBB39_40
; %bb.41:
	s_or_b64 exec, exec, s[10:11]
.LBB39_42:
	s_or_b64 exec, exec, s[8:9]
	v_and_b32_e32 v42, 63, v23
	v_mov_b32_e32 v41, 2
	v_cmp_ne_u32_e32 vcc, 63, v42
	v_cmp_eq_u16_sdwa s[8:9], v8, v41 src0_sel:BYTE_0 src1_sel:DWORD
	v_lshlrev_b64 v[36:37], v23, -1
	v_addc_co_u32_e32 v9, vcc, 0, v23, vcc
	v_and_b32_e32 v4, s9, v37
	v_lshlrev_b32_e32 v43, 2, v9
	v_or_b32_e32 v4, 0x80000000, v4
	ds_bpermute_b32 v9, v43, v6
	v_and_b32_e32 v5, s8, v36
	v_ffbl_b32_e32 v4, v4
	v_add_u32_e32 v4, 32, v4
	v_ffbl_b32_e32 v5, v5
	v_min_u32_e32 v4, v5, v4
	ds_bpermute_b32 v5, v43, v7
	s_waitcnt lgkmcnt(1)
	v_add_co_u32_e32 v9, vcc, v6, v9
	v_addc_co_u32_e32 v38, vcc, 0, v7, vcc
	v_add_co_u32_e32 v39, vcc, 0, v9
	v_cmp_gt_u32_e64 s[8:9], 62, v42
	s_waitcnt lgkmcnt(0)
	v_addc_co_u32_e32 v5, vcc, v5, v38, vcc
	v_cndmask_b32_e64 v38, 0, 1, s[8:9]
	v_cmp_lt_u32_e32 vcc, v42, v4
	v_lshlrev_b32_e32 v38, 1, v38
	v_cndmask_b32_e32 v9, v6, v9, vcc
	v_add_lshl_u32 v44, v38, v23, 2
	v_cndmask_b32_e32 v5, v7, v5, vcc
	ds_bpermute_b32 v38, v44, v9
	ds_bpermute_b32 v46, v44, v5
	v_cndmask_b32_e32 v39, v6, v39, vcc
	v_add_u32_e32 v45, 2, v42
	v_cmp_gt_u32_e64 s[10:11], 60, v42
	s_waitcnt lgkmcnt(1)
	v_add_co_u32_e64 v38, s[8:9], v38, v39
	s_waitcnt lgkmcnt(0)
	v_addc_co_u32_e64 v46, s[8:9], v46, v5, s[8:9]
	v_cmp_gt_u32_e64 s[8:9], v45, v4
	v_cndmask_b32_e64 v5, v46, v5, s[8:9]
	v_cndmask_b32_e64 v46, 0, 1, s[10:11]
	v_lshlrev_b32_e32 v46, 2, v46
	v_cndmask_b32_e64 v9, v38, v9, s[8:9]
	v_add_lshl_u32 v46, v46, v23, 2
	ds_bpermute_b32 v48, v46, v9
	v_cndmask_b32_e64 v38, v38, v39, s[8:9]
	ds_bpermute_b32 v39, v46, v5
	v_add_u32_e32 v47, 4, v42
	v_cmp_gt_u32_e64 s[10:11], 56, v42
	s_waitcnt lgkmcnt(1)
	v_add_co_u32_e64 v49, s[8:9], v48, v38
	s_waitcnt lgkmcnt(0)
	v_addc_co_u32_e64 v39, s[8:9], v39, v5, s[8:9]
	v_cmp_gt_u32_e64 s[8:9], v47, v4
	v_cndmask_b32_e64 v5, v39, v5, s[8:9]
	v_cndmask_b32_e64 v39, 0, 1, s[10:11]
	v_lshlrev_b32_e32 v39, 3, v39
	v_cndmask_b32_e64 v9, v49, v9, s[8:9]
	v_add_lshl_u32 v48, v39, v23, 2
	ds_bpermute_b32 v39, v48, v9
	ds_bpermute_b32 v50, v48, v5
	v_cndmask_b32_e64 v38, v49, v38, s[8:9]
	v_add_u32_e32 v49, 8, v42
	v_cmp_gt_u32_e64 s[10:11], 48, v42
	s_waitcnt lgkmcnt(1)
	v_add_co_u32_e64 v39, s[8:9], v39, v38
	s_waitcnt lgkmcnt(0)
	v_addc_co_u32_e64 v50, s[8:9], v50, v5, s[8:9]
	v_cmp_gt_u32_e64 s[8:9], v49, v4
	v_cndmask_b32_e64 v5, v50, v5, s[8:9]
	v_cndmask_b32_e64 v50, 0, 1, s[10:11]
	v_lshlrev_b32_e32 v50, 4, v50
	v_cndmask_b32_e64 v9, v39, v9, s[8:9]
	v_add_lshl_u32 v50, v50, v23, 2
	ds_bpermute_b32 v52, v50, v9
	v_cndmask_b32_e64 v38, v39, v38, s[8:9]
	ds_bpermute_b32 v39, v50, v5
	v_cmp_gt_u32_e64 s[10:11], 32, v42
	v_add_u32_e32 v51, 16, v42
	s_waitcnt lgkmcnt(1)
	v_add_co_u32_e64 v54, s[8:9], v52, v38
	s_waitcnt lgkmcnt(0)
	v_addc_co_u32_e64 v39, s[8:9], v39, v5, s[8:9]
	v_cndmask_b32_e64 v52, 0, 1, s[10:11]
	v_cmp_gt_u32_e64 s[8:9], v51, v4
	v_lshlrev_b32_e32 v52, 5, v52
	v_cndmask_b32_e64 v9, v54, v9, s[8:9]
	v_add_lshl_u32 v52, v52, v23, 2
	v_cndmask_b32_e64 v5, v39, v5, s[8:9]
	ds_bpermute_b32 v9, v52, v9
	ds_bpermute_b32 v39, v52, v5
	v_add_u32_e32 v53, 32, v42
	v_cndmask_b32_e64 v38, v54, v38, s[8:9]
	v_cmp_le_u32_e64 s[8:9], v53, v4
	s_waitcnt lgkmcnt(1)
	v_cndmask_b32_e64 v9, 0, v9, s[8:9]
	s_waitcnt lgkmcnt(0)
	v_cndmask_b32_e64 v4, 0, v39, s[8:9]
	v_add_co_u32_e64 v9, s[8:9], v9, v38
	v_addc_co_u32_e64 v4, s[8:9], v4, v5, s[8:9]
	v_mov_b32_e32 v35, 0
	v_cndmask_b32_e32 v7, v7, v4, vcc
	v_cndmask_b32_e32 v6, v6, v9, vcc
	s_branch .LBB39_44
.LBB39_43:                              ;   in Loop: Header=BB39_44 Depth=1
	s_or_b64 exec, exec, s[8:9]
	v_cmp_eq_u16_sdwa s[8:9], v8, v41 src0_sel:BYTE_0 src1_sel:DWORD
	v_and_b32_e32 v9, s9, v37
	v_or_b32_e32 v9, 0x80000000, v9
	ds_bpermute_b32 v39, v43, v6
	v_and_b32_e32 v38, s8, v36
	v_ffbl_b32_e32 v9, v9
	v_add_u32_e32 v9, 32, v9
	v_ffbl_b32_e32 v38, v38
	v_min_u32_e32 v9, v38, v9
	ds_bpermute_b32 v38, v43, v7
	s_waitcnt lgkmcnt(1)
	v_add_co_u32_e32 v39, vcc, v6, v39
	v_addc_co_u32_e32 v54, vcc, 0, v7, vcc
	v_add_co_u32_e32 v55, vcc, 0, v39
	s_waitcnt lgkmcnt(0)
	v_addc_co_u32_e32 v38, vcc, v38, v54, vcc
	v_cmp_lt_u32_e32 vcc, v42, v9
	v_cndmask_b32_e32 v39, v6, v39, vcc
	ds_bpermute_b32 v54, v44, v39
	v_cndmask_b32_e32 v38, v7, v38, vcc
	ds_bpermute_b32 v56, v44, v38
	v_cndmask_b32_e32 v55, v6, v55, vcc
	v_subrev_u32_e32 v34, 64, v34
	s_waitcnt lgkmcnt(1)
	v_add_co_u32_e64 v54, s[8:9], v54, v55
	s_waitcnt lgkmcnt(0)
	v_addc_co_u32_e64 v56, s[8:9], v56, v38, s[8:9]
	v_cmp_gt_u32_e64 s[8:9], v45, v9
	v_cndmask_b32_e64 v39, v54, v39, s[8:9]
	ds_bpermute_b32 v57, v46, v39
	v_cndmask_b32_e64 v38, v56, v38, s[8:9]
	ds_bpermute_b32 v56, v46, v38
	v_cndmask_b32_e64 v54, v54, v55, s[8:9]
	s_waitcnt lgkmcnt(1)
	v_add_co_u32_e64 v55, s[8:9], v57, v54
	s_waitcnt lgkmcnt(0)
	v_addc_co_u32_e64 v56, s[8:9], v56, v38, s[8:9]
	v_cmp_gt_u32_e64 s[8:9], v47, v9
	v_cndmask_b32_e64 v39, v55, v39, s[8:9]
	ds_bpermute_b32 v57, v48, v39
	v_cndmask_b32_e64 v38, v56, v38, s[8:9]
	ds_bpermute_b32 v56, v48, v38
	v_cndmask_b32_e64 v54, v55, v54, s[8:9]
	;; [unrolled: 10-line block ×3, first 2 shown]
	s_waitcnt lgkmcnt(1)
	v_add_co_u32_e64 v55, s[8:9], v57, v54
	s_waitcnt lgkmcnt(0)
	v_addc_co_u32_e64 v56, s[8:9], v56, v38, s[8:9]
	v_cmp_gt_u32_e64 s[8:9], v51, v9
	v_cndmask_b32_e64 v39, v55, v39, s[8:9]
	v_cndmask_b32_e64 v38, v56, v38, s[8:9]
	ds_bpermute_b32 v39, v52, v39
	ds_bpermute_b32 v56, v52, v38
	v_cndmask_b32_e64 v54, v55, v54, s[8:9]
	v_cmp_le_u32_e64 s[8:9], v53, v9
	s_waitcnt lgkmcnt(1)
	v_cndmask_b32_e64 v39, 0, v39, s[8:9]
	s_waitcnt lgkmcnt(0)
	v_cndmask_b32_e64 v9, 0, v56, s[8:9]
	v_add_co_u32_e64 v39, s[8:9], v39, v54
	v_addc_co_u32_e64 v9, s[8:9], v9, v38, s[8:9]
	v_cndmask_b32_e32 v6, v6, v39, vcc
	v_cndmask_b32_e32 v7, v7, v9, vcc
	v_add_co_u32_e32 v6, vcc, v6, v4
	v_addc_co_u32_e32 v7, vcc, v7, v5, vcc
.LBB39_44:                              ; =>This Loop Header: Depth=1
                                        ;     Child Loop BB39_47 Depth 2
	v_cmp_ne_u16_sdwa s[8:9], v8, v41 src0_sel:BYTE_0 src1_sel:DWORD
	v_cndmask_b32_e64 v4, 0, 1, s[8:9]
	;;#ASMSTART
	;;#ASMEND
	v_cmp_ne_u32_e32 vcc, 0, v4
	s_cmp_lg_u64 vcc, exec
	v_pk_mov_b32 v[4:5], v[6:7], v[6:7] op_sel:[0,1]
	s_cbranch_scc1 .LBB39_49
; %bb.45:                               ;   in Loop: Header=BB39_44 Depth=1
	v_lshlrev_b64 v[6:7], 4, v[34:35]
	v_mov_b32_e32 v8, s23
	v_add_co_u32_e32 v38, vcc, s22, v6
	v_addc_co_u32_e32 v39, vcc, v8, v7, vcc
	;;#ASMSTART
	global_load_dwordx4 v[6:9], v[38:39] off glc	
s_waitcnt vmcnt(0)
	;;#ASMEND
	v_and_b32_e32 v9, 0xff, v7
	v_and_b32_e32 v54, 0xff00, v7
	;; [unrolled: 1-line block ×3, first 2 shown]
	v_or3_b32 v9, 0, v9, v54
	v_or3_b32 v6, v6, 0, 0
	v_and_b32_e32 v7, 0xff000000, v7
	v_or3_b32 v7, v9, v55, v7
	v_or3_b32 v6, v6, 0, 0
	v_cmp_eq_u16_sdwa s[10:11], v8, v35 src0_sel:BYTE_0 src1_sel:DWORD
	s_and_saveexec_b64 s[8:9], s[10:11]
	s_cbranch_execz .LBB39_43
; %bb.46:                               ;   in Loop: Header=BB39_44 Depth=1
	s_mov_b64 s[10:11], 0
.LBB39_47:                              ;   Parent Loop BB39_44 Depth=1
                                        ; =>  This Inner Loop Header: Depth=2
	;;#ASMSTART
	global_load_dwordx4 v[6:9], v[38:39] off glc	
s_waitcnt vmcnt(0)
	;;#ASMEND
	v_cmp_ne_u16_sdwa s[26:27], v8, v35 src0_sel:BYTE_0 src1_sel:DWORD
	s_or_b64 s[10:11], s[26:27], s[10:11]
	s_andn2_b64 exec, exec, s[10:11]
	s_cbranch_execnz .LBB39_47
; %bb.48:                               ;   in Loop: Header=BB39_44 Depth=1
	s_or_b64 exec, exec, s[10:11]
	s_branch .LBB39_43
.LBB39_49:                              ;   in Loop: Header=BB39_44 Depth=1
                                        ; implicit-def: $vgpr6_vgpr7
                                        ; implicit-def: $vgpr8
	s_cbranch_execz .LBB39_44
; %bb.50:
	s_and_saveexec_b64 s[8:9], s[6:7]
	s_cbranch_execz .LBB39_52
; %bb.51:
	s_add_i32 s10, s24, 64
	s_mov_b32 s11, 0
	s_lshl_b64 s[10:11], s[10:11], 4
	s_add_u32 s10, s22, s10
	v_add_co_u32_e32 v6, vcc, v4, v2
	s_addc_u32 s11, s23, s11
	v_addc_co_u32_e32 v7, vcc, v5, v3, vcc
	v_mov_b32_e32 v8, 2
	v_mov_b32_e32 v9, 0
	v_pk_mov_b32 v[34:35], s[10:11], s[10:11] op_sel:[0,1]
	;;#ASMSTART
	global_store_dwordx4 v[34:35], v[6:9] off	
s_waitcnt vmcnt(0)
	;;#ASMEND
	ds_write_b128 v9, v[2:5] offset:7168
.LBB39_52:
	s_or_b64 exec, exec, s[8:9]
	s_and_b64 exec, exec, s[0:1]
	s_cbranch_execz .LBB39_54
; %bb.53:
	v_mov_b32_e32 v2, 0
	ds_write_b64 v2, v[4:5] offset:24
.LBB39_54:
	s_or_b64 exec, exec, s[12:13]
	v_mov_b32_e32 v5, 0
	s_waitcnt lgkmcnt(0)
	s_barrier
	ds_read_b64 v[2:3], v5 offset:24
	v_cndmask_b32_e64 v4, v40, v32, s[6:7]
	v_cndmask_b32_e64 v1, v1, v33, s[6:7]
	;; [unrolled: 1-line block ×4, first 2 shown]
	s_waitcnt lgkmcnt(0)
	v_add_co_u32_e32 v40, vcc, v2, v4
	v_addc_co_u32_e32 v41, vcc, v3, v1, vcc
	v_add_co_u32_e32 v38, vcc, v40, v28
	v_addc_co_u32_e32 v39, vcc, 0, v41, vcc
	;; [unrolled: 2-line block ×5, first 2 shown]
	s_barrier
	ds_read_b128 v[4:7], v5 offset:7168
	v_add_co_u32_e32 v2, vcc, v32, v20
	v_addc_co_u32_e32 v3, vcc, 0, v33, vcc
	v_add_co_u32_e32 v8, vcc, v2, v18
	v_addc_co_u32_e32 v9, vcc, 0, v3, vcc
	s_branch .LBB39_67
.LBB39_55:
                                        ; implicit-def: $vgpr6_vgpr7
                                        ; implicit-def: $vgpr8_vgpr9
                                        ; implicit-def: $vgpr2_vgpr3
                                        ; implicit-def: $vgpr32_vgpr33
                                        ; implicit-def: $vgpr34_vgpr35
                                        ; implicit-def: $vgpr36_vgpr37
                                        ; implicit-def: $vgpr38_vgpr39
                                        ; implicit-def: $vgpr40_vgpr41
	s_cbranch_execz .LBB39_67
; %bb.56:
	v_mov_b32_dpp v1, v30 row_shr:1 row_mask:0xf bank_mask:0xf
	v_add_co_u32_e32 v1, vcc, v30, v1
	v_mov_b32_e32 v2, 0
	v_addc_co_u32_e32 v3, vcc, 0, v31, vcc
	s_nop 0
	v_mov_b32_dpp v2, v2 row_shr:1 row_mask:0xf bank_mask:0xf
	s_waitcnt lgkmcnt(0)
	v_add_co_u32_e32 v4, vcc, 0, v1
	v_addc_co_u32_e32 v2, vcc, v2, v3, vcc
	v_cndmask_b32_e64 v1, v1, v30, s[4:5]
	v_cndmask_b32_e64 v3, v2, 0, s[4:5]
	;; [unrolled: 1-line block ×3, first 2 shown]
	v_mov_b32_dpp v5, v1 row_shr:2 row_mask:0xf bank_mask:0xf
	v_cndmask_b32_e64 v2, v2, v31, s[4:5]
	v_mov_b32_dpp v6, v3 row_shr:2 row_mask:0xf bank_mask:0xf
	v_add_co_u32_e32 v5, vcc, v5, v4
	v_addc_co_u32_e32 v6, vcc, v6, v2, vcc
	v_cndmask_b32_e64 v1, v1, v5, s[2:3]
	v_cndmask_b32_e64 v3, v3, v6, s[2:3]
	;; [unrolled: 1-line block ×3, first 2 shown]
	v_mov_b32_dpp v5, v1 row_shr:4 row_mask:0xf bank_mask:0xf
	v_cndmask_b32_e64 v2, v2, v6, s[2:3]
	v_mov_b32_dpp v6, v3 row_shr:4 row_mask:0xf bank_mask:0xf
	v_add_co_u32_e32 v5, vcc, v5, v4
	v_addc_co_u32_e32 v6, vcc, v6, v2, vcc
	v_cmp_lt_u32_e32 vcc, 3, v29
	v_cndmask_b32_e32 v1, v1, v5, vcc
	v_cndmask_b32_e32 v3, v3, v6, vcc
	;; [unrolled: 1-line block ×3, first 2 shown]
	v_mov_b32_dpp v5, v1 row_shr:8 row_mask:0xf bank_mask:0xf
	v_cndmask_b32_e32 v2, v2, v6, vcc
	v_mov_b32_dpp v6, v3 row_shr:8 row_mask:0xf bank_mask:0xf
	v_add_co_u32_e32 v5, vcc, v5, v4
	v_addc_co_u32_e32 v6, vcc, v6, v2, vcc
	v_cmp_lt_u32_e32 vcc, 7, v29
	v_cndmask_b32_e32 v8, v1, v5, vcc
	v_cndmask_b32_e32 v7, v3, v6, vcc
	;; [unrolled: 1-line block ×4, first 2 shown]
	v_mov_b32_dpp v3, v8 row_bcast:15 row_mask:0xf bank_mask:0xf
	v_mov_b32_dpp v4, v7 row_bcast:15 row_mask:0xf bank_mask:0xf
	v_add_co_u32_e32 v3, vcc, v3, v2
	v_addc_co_u32_e32 v5, vcc, v4, v1, vcc
	v_cmp_eq_u32_e64 s[2:3], 0, v27
	v_cndmask_b32_e64 v6, v5, v7, s[2:3]
	v_cndmask_b32_e64 v4, v3, v8, s[2:3]
	v_cmp_eq_u32_e32 vcc, 0, v23
	v_mov_b32_dpp v6, v6 row_bcast:31 row_mask:0xf bank_mask:0xf
	v_mov_b32_dpp v4, v4 row_bcast:31 row_mask:0xf bank_mask:0xf
	v_cmp_ne_u32_e64 s[4:5], 0, v23
	s_and_saveexec_b64 s[6:7], s[4:5]
; %bb.57:
	v_cndmask_b32_e64 v1, v5, v1, s[2:3]
	v_cndmask_b32_e64 v2, v3, v2, s[2:3]
	v_cmp_lt_u32_e64 s[2:3], 31, v23
	v_cndmask_b32_e64 v4, 0, v4, s[2:3]
	v_cndmask_b32_e64 v3, 0, v6, s[2:3]
	v_add_co_u32_e64 v30, s[2:3], v4, v2
	v_addc_co_u32_e64 v31, s[2:3], v3, v1, s[2:3]
; %bb.58:
	s_or_b64 exec, exec, s[6:7]
	v_or_b32_e32 v2, 63, v0
	v_lshrrev_b32_e32 v1, 6, v0
	v_cmp_eq_u32_e64 s[2:3], v2, v0
	s_and_saveexec_b64 s[4:5], s[2:3]
	s_cbranch_execz .LBB39_60
; %bb.59:
	v_lshlrev_b32_e32 v2, 3, v1
	ds_write_b64 v2, v[30:31]
.LBB39_60:
	s_or_b64 exec, exec, s[4:5]
	v_cmp_gt_u32_e64 s[2:3], 4, v0
	s_waitcnt lgkmcnt(0)
	s_barrier
	s_and_saveexec_b64 s[6:7], s[2:3]
	s_cbranch_execz .LBB39_62
; %bb.61:
	v_add_u32_e32 v4, v25, v0
	ds_read_b64 v[2:3], v4
	v_and_b32_e32 v5, 3, v23
	v_cmp_ne_u32_e64 s[4:5], 1, v5
	s_waitcnt lgkmcnt(0)
	v_mov_b32_dpp v6, v2 row_shr:1 row_mask:0xf bank_mask:0xf
	v_add_co_u32_e64 v6, s[2:3], v2, v6
	v_addc_co_u32_e64 v8, s[2:3], 0, v3, s[2:3]
	v_mov_b32_dpp v7, v3 row_shr:1 row_mask:0xf bank_mask:0xf
	v_add_co_u32_e64 v9, s[2:3], 0, v6
	v_addc_co_u32_e64 v7, s[2:3], v7, v8, s[2:3]
	v_cmp_eq_u32_e64 s[2:3], 0, v5
	v_cndmask_b32_e64 v6, v6, v2, s[2:3]
	v_cndmask_b32_e64 v8, v7, v3, s[2:3]
	s_nop 0
	v_mov_b32_dpp v6, v6 row_shr:2 row_mask:0xf bank_mask:0xf
	v_mov_b32_dpp v8, v8 row_shr:2 row_mask:0xf bank_mask:0xf
	v_cndmask_b32_e64 v5, 0, v6, s[4:5]
	v_cndmask_b32_e64 v6, 0, v8, s[4:5]
	v_add_co_u32_e64 v5, s[4:5], v5, v9
	v_addc_co_u32_e64 v6, s[4:5], v6, v7, s[4:5]
	v_cndmask_b32_e64 v3, v6, v3, s[2:3]
	v_cndmask_b32_e64 v2, v5, v2, s[2:3]
	ds_write_b64 v4, v[2:3]
.LBB39_62:
	s_or_b64 exec, exec, s[6:7]
	v_cmp_lt_u32_e64 s[2:3], 63, v0
	v_pk_mov_b32 v[2:3], 0, 0
	s_waitcnt lgkmcnt(0)
	s_barrier
	s_and_saveexec_b64 s[4:5], s[2:3]
	s_cbranch_execz .LBB39_64
; %bb.63:
	v_lshl_add_u32 v1, v1, 3, -8
	ds_read_b64 v[2:3], v1
.LBB39_64:
	s_or_b64 exec, exec, s[4:5]
	s_waitcnt lgkmcnt(0)
	v_add_co_u32_e64 v1, s[2:3], v2, v30
	v_addc_co_u32_e64 v4, s[2:3], v3, v31, s[2:3]
	v_add_u32_e32 v5, -1, v23
	v_and_b32_e32 v6, 64, v23
	v_cmp_lt_i32_e64 s[2:3], v5, v6
	v_cndmask_b32_e64 v5, v5, v23, s[2:3]
	v_lshlrev_b32_e32 v5, 2, v5
	v_mov_b32_e32 v7, 0
	ds_bpermute_b32 v1, v5, v1
	ds_bpermute_b32 v8, v5, v4
	ds_read_b64 v[4:5], v7 offset:24
	s_and_saveexec_b64 s[2:3], s[0:1]
	s_cbranch_execz .LBB39_66
; %bb.65:
	s_add_u32 s4, s22, 0x400
	s_addc_u32 s5, s23, 0
	v_mov_b32_e32 v6, 2
	v_pk_mov_b32 v[30:31], s[4:5], s[4:5] op_sel:[0,1]
	s_waitcnt lgkmcnt(0)
	;;#ASMSTART
	global_store_dwordx4 v[30:31], v[4:7] off	
s_waitcnt vmcnt(0)
	;;#ASMEND
.LBB39_66:
	s_or_b64 exec, exec, s[2:3]
	s_waitcnt lgkmcnt(2)
	v_cndmask_b32_e32 v1, v1, v2, vcc
	s_waitcnt lgkmcnt(1)
	v_cndmask_b32_e32 v2, v8, v3, vcc
	v_cndmask_b32_e64 v40, v1, 0, s[0:1]
	v_cndmask_b32_e64 v41, v2, 0, s[0:1]
	v_add_co_u32_e32 v38, vcc, v40, v28
	v_addc_co_u32_e32 v39, vcc, 0, v41, vcc
	v_add_co_u32_e32 v36, vcc, v38, v26
	v_addc_co_u32_e32 v37, vcc, 0, v39, vcc
	;; [unrolled: 2-line block ×6, first 2 shown]
	s_waitcnt lgkmcnt(0)
	s_barrier
	v_pk_mov_b32 v[6:7], 0, 0
.LBB39_67:
	s_mov_b64 s[2:3], 0x101
	s_waitcnt lgkmcnt(0)
	v_cmp_gt_u64_e32 vcc, s[2:3], v[4:5]
	s_mov_b64 s[2:3], -1
	s_cbranch_vccnz .LBB39_71
; %bb.68:
	s_and_b64 vcc, exec, s[2:3]
	s_cbranch_vccnz .LBB39_93
.LBB39_69:
	s_and_b64 s[0:1], s[0:1], s[18:19]
	s_and_saveexec_b64 s[2:3], s[0:1]
	s_cbranch_execnz .LBB39_112
.LBB39_70:
	s_endpgm
.LBB39_71:
	v_add_co_u32_e32 v30, vcc, v6, v4
	v_addc_co_u32_e32 v31, vcc, v7, v5, vcc
	s_waitcnt vmcnt(0)
	v_lshlrev_b64 v[42:43], 2, v[12:13]
	v_mov_b32_e32 v23, s15
	v_add_co_u32_e32 v1, vcc, s14, v42
	v_addc_co_u32_e32 v23, vcc, v23, v43, vcc
	v_cmp_lt_u64_e32 vcc, v[40:41], v[30:31]
	s_or_b64 s[4:5], s[20:21], vcc
	s_and_saveexec_b64 s[2:3], s[4:5]
	s_cbranch_execz .LBB39_74
; %bb.72:
	v_cmp_eq_u32_e32 vcc, 1, v28
	s_and_b64 exec, exec, vcc
	s_cbranch_execz .LBB39_74
; %bb.73:
	v_lshlrev_b64 v[42:43], 2, v[40:41]
	v_add_co_u32_e32 v42, vcc, v1, v42
	v_addc_co_u32_e32 v43, vcc, v23, v43, vcc
	global_store_dword v[42:43], v16, off
.LBB39_74:
	s_or_b64 exec, exec, s[2:3]
	v_cmp_lt_u64_e32 vcc, v[38:39], v[30:31]
	s_or_b64 s[4:5], s[20:21], vcc
	s_and_saveexec_b64 s[2:3], s[4:5]
	s_cbranch_execz .LBB39_77
; %bb.75:
	v_cmp_eq_u32_e32 vcc, 1, v26
	s_and_b64 exec, exec, vcc
	s_cbranch_execz .LBB39_77
; %bb.76:
	v_lshlrev_b64 v[42:43], 2, v[38:39]
	v_add_co_u32_e32 v42, vcc, v1, v42
	v_addc_co_u32_e32 v43, vcc, v23, v43, vcc
	global_store_dword v[42:43], v17, off
.LBB39_77:
	s_or_b64 exec, exec, s[2:3]
	;; [unrolled: 15-line block ×7, first 2 shown]
	s_branch .LBB39_69
.LBB39_93:
	v_cmp_eq_u32_e32 vcc, 1, v28
	s_and_saveexec_b64 s[2:3], vcc
	s_cbranch_execnz .LBB39_113
; %bb.94:
	s_or_b64 exec, exec, s[2:3]
	v_cmp_eq_u32_e32 vcc, 1, v26
	s_and_saveexec_b64 s[2:3], vcc
	s_cbranch_execnz .LBB39_114
.LBB39_95:
	s_or_b64 exec, exec, s[2:3]
	v_cmp_eq_u32_e32 vcc, 1, v24
	s_and_saveexec_b64 s[2:3], vcc
	s_cbranch_execnz .LBB39_115
.LBB39_96:
	s_or_b64 exec, exec, s[2:3]
	v_cmp_eq_u32_e32 vcc, 1, v22
	s_and_saveexec_b64 s[2:3], vcc
	s_cbranch_execnz .LBB39_116
.LBB39_97:
	s_or_b64 exec, exec, s[2:3]
	v_cmp_eq_u32_e32 vcc, 1, v20
	s_and_saveexec_b64 s[2:3], vcc
	s_cbranch_execnz .LBB39_117
.LBB39_98:
	s_or_b64 exec, exec, s[2:3]
	v_cmp_eq_u32_e32 vcc, 1, v18
	s_and_saveexec_b64 s[2:3], vcc
	s_cbranch_execnz .LBB39_118
.LBB39_99:
	s_or_b64 exec, exec, s[2:3]
	v_cmp_eq_u32_e32 vcc, 1, v21
	s_and_saveexec_b64 s[2:3], vcc
	s_cbranch_execz .LBB39_101
.LBB39_100:
	v_sub_u32_e32 v1, v8, v6
	v_lshlrev_b32_e32 v1, 2, v1
	ds_write_b32 v1, v19
.LBB39_101:
	s_or_b64 exec, exec, s[2:3]
	v_mov_b32_e32 v1, 0
	v_cmp_gt_u64_e32 vcc, v[4:5], v[0:1]
	s_waitcnt lgkmcnt(0)
	s_barrier
	s_and_saveexec_b64 s[8:9], vcc
	s_cbranch_execz .LBB39_111
; %bb.102:
	v_not_b32_e32 v3, v0
	v_not_b32_e32 v2, 0
	v_add_co_u32_e32 v8, vcc, v4, v3
	v_addc_co_u32_e32 v9, vcc, v5, v2, vcc
	s_mov_b64 s[2:3], 0x2f00
	s_mov_b64 s[4:5], 0x2eff
	v_cmp_gt_u64_e64 s[2:3], s[2:3], v[8:9]
	v_cmp_lt_u64_e32 vcc, s[4:5], v[8:9]
	v_pk_mov_b32 v[2:3], v[0:1], v[0:1] op_sel:[0,1]
	s_and_saveexec_b64 s[10:11], vcc
	s_cbranch_execz .LBB39_108
; %bb.103:
	v_alignbit_b32 v2, v9, v8, 8
	s_mov_b32 s4, 0xffffff
	s_mov_b32 s6, -1
	v_lshlrev_b32_e32 v3, 8, v2
	v_cmp_lt_u32_e32 vcc, s4, v2
	v_not_b32_e32 v2, v0
	s_movk_i32 s7, 0xff
	v_cmp_gt_u32_e64 s[4:5], v3, v2
	v_xor_b32_e32 v2, 0xfffffeff, v0
	v_cmp_lt_u64_e64 s[6:7], s[6:7], v[8:9]
	s_or_b64 s[12:13], s[4:5], vcc
	v_cmp_lt_u32_e64 s[4:5], v2, v3
	s_or_b64 s[6:7], vcc, s[6:7]
	s_or_b64 s[4:5], s[6:7], s[4:5]
	s_or_b64 s[6:7], s[12:13], s[4:5]
	s_mov_b64 s[4:5], -1
	s_xor_b64 s[12:13], s[6:7], -1
	v_pk_mov_b32 v[2:3], v[0:1], v[0:1] op_sel:[0,1]
	s_and_saveexec_b64 s[6:7], s[12:13]
	s_cbranch_execz .LBB39_107
; %bb.104:
	v_lshrrev_b64 v[2:3], 8, v[8:9]
	v_add_co_u32_e32 v14, vcc, 1, v2
	v_addc_co_u32_e32 v15, vcc, 0, v3, vcc
	v_lshlrev_b64 v[8:9], 2, v[6:7]
	s_waitcnt vmcnt(0)
	v_lshlrev_b64 v[10:11], 2, v[12:13]
	v_add_co_u32_e32 v8, vcc, v8, v10
	v_addc_co_u32_e32 v9, vcc, v9, v11, vcc
	v_mov_b32_e32 v11, s15
	v_add_co_u32_e32 v8, vcc, s14, v8
	v_lshlrev_b32_e32 v10, 2, v0
	v_addc_co_u32_e32 v9, vcc, v11, v9, vcc
	v_add_co_u32_e32 v8, vcc, v8, v10
	v_addc_co_u32_e32 v9, vcc, 0, v9, vcc
	s_movk_i32 s4, 0x400
	v_or_b32_e32 v2, 0x100, v0
	v_mov_b32_e32 v3, v1
	v_add_co_u32_e32 v18, vcc, s4, v8
	v_and_b32_e32 v16, -2, v14
	v_mov_b32_e32 v17, v15
	v_addc_co_u32_e32 v19, vcc, 0, v9, vcc
	v_pk_mov_b32 v[10:11], v[2:3], v[2:3] op_sel:[0,1]
	s_mov_b64 s[12:13], 0
	v_pk_mov_b32 v[20:21], v[16:17], v[16:17] op_sel:[0,1]
	v_pk_mov_b32 v[8:9], v[0:1], v[0:1] op_sel:[0,1]
.LBB39_105:                             ; =>This Inner Loop Header: Depth=1
	v_lshlrev_b32_e32 v1, 2, v8
	v_lshlrev_b32_e32 v2, 2, v10
	ds_read_b32 v1, v1
	ds_read_b32 v2, v2
	v_add_co_u32_e32 v10, vcc, 0x200, v10
	v_addc_co_u32_e32 v11, vcc, 0, v11, vcc
	v_add_co_u32_e64 v20, s[4:5], -2, v20
	v_add_co_u32_e32 v8, vcc, 0x200, v8
	v_addc_co_u32_e64 v21, s[4:5], -1, v21, s[4:5]
	v_addc_co_u32_e32 v9, vcc, 0, v9, vcc
	v_cmp_eq_u64_e64 s[4:5], 0, v[20:21]
	s_waitcnt lgkmcnt(1)
	global_store_dword v[18:19], v1, off offset:-1024
	s_waitcnt lgkmcnt(0)
	global_store_dword v[18:19], v2, off
	v_add_co_u32_e32 v18, vcc, 0x800, v18
	s_or_b64 s[12:13], s[4:5], s[12:13]
	v_addc_co_u32_e32 v19, vcc, 0, v19, vcc
	s_andn2_b64 exec, exec, s[12:13]
	s_cbranch_execnz .LBB39_105
; %bb.106:
	s_or_b64 exec, exec, s[12:13]
	v_lshlrev_b64 v[2:3], 8, v[16:17]
	v_cmp_ne_u64_e32 vcc, v[14:15], v[16:17]
	v_or_b32_e32 v3, 0, v3
	v_or_b32_e32 v2, v2, v0
	v_lshl_or_b32 v0, v16, 8, v0
	s_orn2_b64 s[4:5], vcc, exec
.LBB39_107:
	s_or_b64 exec, exec, s[6:7]
	s_andn2_b64 s[2:3], s[2:3], exec
	s_and_b64 s[4:5], s[4:5], exec
	s_or_b64 s[2:3], s[2:3], s[4:5]
.LBB39_108:
	s_or_b64 exec, exec, s[10:11]
	s_and_b64 exec, exec, s[2:3]
	s_cbranch_execz .LBB39_111
; %bb.109:
	v_lshlrev_b64 v[8:9], 2, v[6:7]
	v_mov_b32_e32 v1, s15
	v_add_co_u32_e32 v10, vcc, s14, v8
	v_addc_co_u32_e32 v1, vcc, v1, v9, vcc
	s_waitcnt vmcnt(0)
	v_lshlrev_b64 v[8:9], 2, v[12:13]
	v_add_co_u32_e32 v8, vcc, v10, v8
	v_addc_co_u32_e32 v9, vcc, v1, v9, vcc
	v_add_u32_e32 v0, 0x100, v0
	s_mov_b64 s[4:5], 0
	v_mov_b32_e32 v1, 0
.LBB39_110:                             ; =>This Inner Loop Header: Depth=1
	v_lshlrev_b32_e32 v14, 2, v2
	ds_read_b32 v14, v14
	v_lshlrev_b64 v[10:11], 2, v[2:3]
	v_cmp_le_u64_e32 vcc, v[4:5], v[0:1]
	v_add_co_u32_e64 v10, s[2:3], v8, v10
	v_pk_mov_b32 v[2:3], v[0:1], v[0:1] op_sel:[0,1]
	v_add_u32_e32 v0, 0x100, v0
	v_addc_co_u32_e64 v11, s[2:3], v9, v11, s[2:3]
	s_or_b64 s[4:5], vcc, s[4:5]
	s_waitcnt lgkmcnt(0)
	global_store_dword v[10:11], v14, off
	s_andn2_b64 exec, exec, s[4:5]
	s_cbranch_execnz .LBB39_110
.LBB39_111:
	s_or_b64 exec, exec, s[8:9]
	s_and_b64 s[0:1], s[0:1], s[18:19]
	s_and_saveexec_b64 s[2:3], s[0:1]
	s_cbranch_execz .LBB39_70
.LBB39_112:
	v_add_co_u32_e32 v0, vcc, v6, v4
	v_addc_co_u32_e32 v1, vcc, v7, v5, vcc
	s_waitcnt vmcnt(0)
	v_add_co_u32_e32 v0, vcc, v0, v12
	v_mov_b32_e32 v2, 0
	v_addc_co_u32_e32 v1, vcc, v1, v13, vcc
	global_store_dwordx2 v2, v[0:1], s[16:17]
	s_endpgm
.LBB39_113:
	v_sub_u32_e32 v1, v40, v6
	v_lshlrev_b32_e32 v1, 2, v1
	ds_write_b32 v1, v16
	s_or_b64 exec, exec, s[2:3]
	v_cmp_eq_u32_e32 vcc, 1, v26
	s_and_saveexec_b64 s[2:3], vcc
	s_cbranch_execz .LBB39_95
.LBB39_114:
	v_sub_u32_e32 v1, v38, v6
	v_lshlrev_b32_e32 v1, 2, v1
	ds_write_b32 v1, v17
	s_or_b64 exec, exec, s[2:3]
	v_cmp_eq_u32_e32 vcc, 1, v24
	s_and_saveexec_b64 s[2:3], vcc
	s_cbranch_execz .LBB39_96
.LBB39_115:
	v_sub_u32_e32 v1, v36, v6
	v_lshlrev_b32_e32 v1, 2, v1
	ds_write_b32 v1, v14
	s_or_b64 exec, exec, s[2:3]
	v_cmp_eq_u32_e32 vcc, 1, v22
	s_and_saveexec_b64 s[2:3], vcc
	s_cbranch_execz .LBB39_97
.LBB39_116:
	v_sub_u32_e32 v1, v34, v6
	v_lshlrev_b32_e32 v1, 2, v1
	ds_write_b32 v1, v15
	s_or_b64 exec, exec, s[2:3]
	v_cmp_eq_u32_e32 vcc, 1, v20
	s_and_saveexec_b64 s[2:3], vcc
	s_cbranch_execz .LBB39_98
.LBB39_117:
	v_sub_u32_e32 v1, v32, v6
	v_lshlrev_b32_e32 v1, 2, v1
	ds_write_b32 v1, v10
	s_or_b64 exec, exec, s[2:3]
	v_cmp_eq_u32_e32 vcc, 1, v18
	s_and_saveexec_b64 s[2:3], vcc
	s_cbranch_execz .LBB39_99
.LBB39_118:
	v_sub_u32_e32 v1, v2, v6
	v_lshlrev_b32_e32 v1, 2, v1
	ds_write_b32 v1, v11
	s_or_b64 exec, exec, s[2:3]
	v_cmp_eq_u32_e32 vcc, 1, v21
	s_and_saveexec_b64 s[2:3], vcc
	s_cbranch_execnz .LBB39_100
	s_branch .LBB39_101
	.section	.rodata,"a",@progbits
	.p2align	6, 0x0
	.amdhsa_kernel _ZN7rocprim17ROCPRIM_400000_NS6detail17trampoline_kernelINS0_14default_configENS1_25partition_config_selectorILNS1_17partition_subalgoE5EiNS0_10empty_typeEbEEZZNS1_14partition_implILS5_5ELb0ES3_mN6thrust23THRUST_200600_302600_NS17counting_iteratorIiNSA_11use_defaultESC_SC_EEPS6_NSA_18transform_iteratorINSA_8identityIiEENSA_6detail15normal_iteratorINSA_10device_ptrIiEEEESC_SC_EENS0_5tupleIJSM_S6_EEENSO_IJSE_SE_EEES6_PlJS6_EEE10hipError_tPvRmT3_T4_T5_T6_T7_T9_mT8_P12ihipStream_tbDpT10_ENKUlT_T0_E_clISt17integral_constantIbLb0EES1A_IbLb1EEEEDaS16_S17_EUlS16_E_NS1_11comp_targetILNS1_3genE4ELNS1_11target_archE910ELNS1_3gpuE8ELNS1_3repE0EEENS1_30default_config_static_selectorELNS0_4arch9wavefront6targetE1EEEvT1_
		.amdhsa_group_segment_fixed_size 7184
		.amdhsa_private_segment_fixed_size 0
		.amdhsa_kernarg_size 136
		.amdhsa_user_sgpr_count 6
		.amdhsa_user_sgpr_private_segment_buffer 1
		.amdhsa_user_sgpr_dispatch_ptr 0
		.amdhsa_user_sgpr_queue_ptr 0
		.amdhsa_user_sgpr_kernarg_segment_ptr 1
		.amdhsa_user_sgpr_dispatch_id 0
		.amdhsa_user_sgpr_flat_scratch_init 0
		.amdhsa_user_sgpr_kernarg_preload_length 0
		.amdhsa_user_sgpr_kernarg_preload_offset 0
		.amdhsa_user_sgpr_private_segment_size 0
		.amdhsa_uses_dynamic_stack 0
		.amdhsa_system_sgpr_private_segment_wavefront_offset 0
		.amdhsa_system_sgpr_workgroup_id_x 1
		.amdhsa_system_sgpr_workgroup_id_y 0
		.amdhsa_system_sgpr_workgroup_id_z 0
		.amdhsa_system_sgpr_workgroup_info 0
		.amdhsa_system_vgpr_workitem_id 0
		.amdhsa_next_free_vgpr 58
		.amdhsa_next_free_sgpr 28
		.amdhsa_accum_offset 60
		.amdhsa_reserve_vcc 1
		.amdhsa_reserve_flat_scratch 0
		.amdhsa_float_round_mode_32 0
		.amdhsa_float_round_mode_16_64 0
		.amdhsa_float_denorm_mode_32 3
		.amdhsa_float_denorm_mode_16_64 3
		.amdhsa_dx10_clamp 1
		.amdhsa_ieee_mode 1
		.amdhsa_fp16_overflow 0
		.amdhsa_tg_split 0
		.amdhsa_exception_fp_ieee_invalid_op 0
		.amdhsa_exception_fp_denorm_src 0
		.amdhsa_exception_fp_ieee_div_zero 0
		.amdhsa_exception_fp_ieee_overflow 0
		.amdhsa_exception_fp_ieee_underflow 0
		.amdhsa_exception_fp_ieee_inexact 0
		.amdhsa_exception_int_div_zero 0
	.end_amdhsa_kernel
	.section	.text._ZN7rocprim17ROCPRIM_400000_NS6detail17trampoline_kernelINS0_14default_configENS1_25partition_config_selectorILNS1_17partition_subalgoE5EiNS0_10empty_typeEbEEZZNS1_14partition_implILS5_5ELb0ES3_mN6thrust23THRUST_200600_302600_NS17counting_iteratorIiNSA_11use_defaultESC_SC_EEPS6_NSA_18transform_iteratorINSA_8identityIiEENSA_6detail15normal_iteratorINSA_10device_ptrIiEEEESC_SC_EENS0_5tupleIJSM_S6_EEENSO_IJSE_SE_EEES6_PlJS6_EEE10hipError_tPvRmT3_T4_T5_T6_T7_T9_mT8_P12ihipStream_tbDpT10_ENKUlT_T0_E_clISt17integral_constantIbLb0EES1A_IbLb1EEEEDaS16_S17_EUlS16_E_NS1_11comp_targetILNS1_3genE4ELNS1_11target_archE910ELNS1_3gpuE8ELNS1_3repE0EEENS1_30default_config_static_selectorELNS0_4arch9wavefront6targetE1EEEvT1_,"axG",@progbits,_ZN7rocprim17ROCPRIM_400000_NS6detail17trampoline_kernelINS0_14default_configENS1_25partition_config_selectorILNS1_17partition_subalgoE5EiNS0_10empty_typeEbEEZZNS1_14partition_implILS5_5ELb0ES3_mN6thrust23THRUST_200600_302600_NS17counting_iteratorIiNSA_11use_defaultESC_SC_EEPS6_NSA_18transform_iteratorINSA_8identityIiEENSA_6detail15normal_iteratorINSA_10device_ptrIiEEEESC_SC_EENS0_5tupleIJSM_S6_EEENSO_IJSE_SE_EEES6_PlJS6_EEE10hipError_tPvRmT3_T4_T5_T6_T7_T9_mT8_P12ihipStream_tbDpT10_ENKUlT_T0_E_clISt17integral_constantIbLb0EES1A_IbLb1EEEEDaS16_S17_EUlS16_E_NS1_11comp_targetILNS1_3genE4ELNS1_11target_archE910ELNS1_3gpuE8ELNS1_3repE0EEENS1_30default_config_static_selectorELNS0_4arch9wavefront6targetE1EEEvT1_,comdat
.Lfunc_end39:
	.size	_ZN7rocprim17ROCPRIM_400000_NS6detail17trampoline_kernelINS0_14default_configENS1_25partition_config_selectorILNS1_17partition_subalgoE5EiNS0_10empty_typeEbEEZZNS1_14partition_implILS5_5ELb0ES3_mN6thrust23THRUST_200600_302600_NS17counting_iteratorIiNSA_11use_defaultESC_SC_EEPS6_NSA_18transform_iteratorINSA_8identityIiEENSA_6detail15normal_iteratorINSA_10device_ptrIiEEEESC_SC_EENS0_5tupleIJSM_S6_EEENSO_IJSE_SE_EEES6_PlJS6_EEE10hipError_tPvRmT3_T4_T5_T6_T7_T9_mT8_P12ihipStream_tbDpT10_ENKUlT_T0_E_clISt17integral_constantIbLb0EES1A_IbLb1EEEEDaS16_S17_EUlS16_E_NS1_11comp_targetILNS1_3genE4ELNS1_11target_archE910ELNS1_3gpuE8ELNS1_3repE0EEENS1_30default_config_static_selectorELNS0_4arch9wavefront6targetE1EEEvT1_, .Lfunc_end39-_ZN7rocprim17ROCPRIM_400000_NS6detail17trampoline_kernelINS0_14default_configENS1_25partition_config_selectorILNS1_17partition_subalgoE5EiNS0_10empty_typeEbEEZZNS1_14partition_implILS5_5ELb0ES3_mN6thrust23THRUST_200600_302600_NS17counting_iteratorIiNSA_11use_defaultESC_SC_EEPS6_NSA_18transform_iteratorINSA_8identityIiEENSA_6detail15normal_iteratorINSA_10device_ptrIiEEEESC_SC_EENS0_5tupleIJSM_S6_EEENSO_IJSE_SE_EEES6_PlJS6_EEE10hipError_tPvRmT3_T4_T5_T6_T7_T9_mT8_P12ihipStream_tbDpT10_ENKUlT_T0_E_clISt17integral_constantIbLb0EES1A_IbLb1EEEEDaS16_S17_EUlS16_E_NS1_11comp_targetILNS1_3genE4ELNS1_11target_archE910ELNS1_3gpuE8ELNS1_3repE0EEENS1_30default_config_static_selectorELNS0_4arch9wavefront6targetE1EEEvT1_
                                        ; -- End function
	.section	.AMDGPU.csdata,"",@progbits
; Kernel info:
; codeLenInByte = 6476
; NumSgprs: 32
; NumVgprs: 58
; NumAgprs: 0
; TotalNumVgprs: 58
; ScratchSize: 0
; MemoryBound: 0
; FloatMode: 240
; IeeeMode: 1
; LDSByteSize: 7184 bytes/workgroup (compile time only)
; SGPRBlocks: 3
; VGPRBlocks: 7
; NumSGPRsForWavesPerEU: 32
; NumVGPRsForWavesPerEU: 58
; AccumOffset: 60
; Occupancy: 8
; WaveLimiterHint : 1
; COMPUTE_PGM_RSRC2:SCRATCH_EN: 0
; COMPUTE_PGM_RSRC2:USER_SGPR: 6
; COMPUTE_PGM_RSRC2:TRAP_HANDLER: 0
; COMPUTE_PGM_RSRC2:TGID_X_EN: 1
; COMPUTE_PGM_RSRC2:TGID_Y_EN: 0
; COMPUTE_PGM_RSRC2:TGID_Z_EN: 0
; COMPUTE_PGM_RSRC2:TIDIG_COMP_CNT: 0
; COMPUTE_PGM_RSRC3_GFX90A:ACCUM_OFFSET: 14
; COMPUTE_PGM_RSRC3_GFX90A:TG_SPLIT: 0
	.section	.text._ZN7rocprim17ROCPRIM_400000_NS6detail17trampoline_kernelINS0_14default_configENS1_25partition_config_selectorILNS1_17partition_subalgoE5EiNS0_10empty_typeEbEEZZNS1_14partition_implILS5_5ELb0ES3_mN6thrust23THRUST_200600_302600_NS17counting_iteratorIiNSA_11use_defaultESC_SC_EEPS6_NSA_18transform_iteratorINSA_8identityIiEENSA_6detail15normal_iteratorINSA_10device_ptrIiEEEESC_SC_EENS0_5tupleIJSM_S6_EEENSO_IJSE_SE_EEES6_PlJS6_EEE10hipError_tPvRmT3_T4_T5_T6_T7_T9_mT8_P12ihipStream_tbDpT10_ENKUlT_T0_E_clISt17integral_constantIbLb0EES1A_IbLb1EEEEDaS16_S17_EUlS16_E_NS1_11comp_targetILNS1_3genE3ELNS1_11target_archE908ELNS1_3gpuE7ELNS1_3repE0EEENS1_30default_config_static_selectorELNS0_4arch9wavefront6targetE1EEEvT1_,"axG",@progbits,_ZN7rocprim17ROCPRIM_400000_NS6detail17trampoline_kernelINS0_14default_configENS1_25partition_config_selectorILNS1_17partition_subalgoE5EiNS0_10empty_typeEbEEZZNS1_14partition_implILS5_5ELb0ES3_mN6thrust23THRUST_200600_302600_NS17counting_iteratorIiNSA_11use_defaultESC_SC_EEPS6_NSA_18transform_iteratorINSA_8identityIiEENSA_6detail15normal_iteratorINSA_10device_ptrIiEEEESC_SC_EENS0_5tupleIJSM_S6_EEENSO_IJSE_SE_EEES6_PlJS6_EEE10hipError_tPvRmT3_T4_T5_T6_T7_T9_mT8_P12ihipStream_tbDpT10_ENKUlT_T0_E_clISt17integral_constantIbLb0EES1A_IbLb1EEEEDaS16_S17_EUlS16_E_NS1_11comp_targetILNS1_3genE3ELNS1_11target_archE908ELNS1_3gpuE7ELNS1_3repE0EEENS1_30default_config_static_selectorELNS0_4arch9wavefront6targetE1EEEvT1_,comdat
	.protected	_ZN7rocprim17ROCPRIM_400000_NS6detail17trampoline_kernelINS0_14default_configENS1_25partition_config_selectorILNS1_17partition_subalgoE5EiNS0_10empty_typeEbEEZZNS1_14partition_implILS5_5ELb0ES3_mN6thrust23THRUST_200600_302600_NS17counting_iteratorIiNSA_11use_defaultESC_SC_EEPS6_NSA_18transform_iteratorINSA_8identityIiEENSA_6detail15normal_iteratorINSA_10device_ptrIiEEEESC_SC_EENS0_5tupleIJSM_S6_EEENSO_IJSE_SE_EEES6_PlJS6_EEE10hipError_tPvRmT3_T4_T5_T6_T7_T9_mT8_P12ihipStream_tbDpT10_ENKUlT_T0_E_clISt17integral_constantIbLb0EES1A_IbLb1EEEEDaS16_S17_EUlS16_E_NS1_11comp_targetILNS1_3genE3ELNS1_11target_archE908ELNS1_3gpuE7ELNS1_3repE0EEENS1_30default_config_static_selectorELNS0_4arch9wavefront6targetE1EEEvT1_ ; -- Begin function _ZN7rocprim17ROCPRIM_400000_NS6detail17trampoline_kernelINS0_14default_configENS1_25partition_config_selectorILNS1_17partition_subalgoE5EiNS0_10empty_typeEbEEZZNS1_14partition_implILS5_5ELb0ES3_mN6thrust23THRUST_200600_302600_NS17counting_iteratorIiNSA_11use_defaultESC_SC_EEPS6_NSA_18transform_iteratorINSA_8identityIiEENSA_6detail15normal_iteratorINSA_10device_ptrIiEEEESC_SC_EENS0_5tupleIJSM_S6_EEENSO_IJSE_SE_EEES6_PlJS6_EEE10hipError_tPvRmT3_T4_T5_T6_T7_T9_mT8_P12ihipStream_tbDpT10_ENKUlT_T0_E_clISt17integral_constantIbLb0EES1A_IbLb1EEEEDaS16_S17_EUlS16_E_NS1_11comp_targetILNS1_3genE3ELNS1_11target_archE908ELNS1_3gpuE7ELNS1_3repE0EEENS1_30default_config_static_selectorELNS0_4arch9wavefront6targetE1EEEvT1_
	.globl	_ZN7rocprim17ROCPRIM_400000_NS6detail17trampoline_kernelINS0_14default_configENS1_25partition_config_selectorILNS1_17partition_subalgoE5EiNS0_10empty_typeEbEEZZNS1_14partition_implILS5_5ELb0ES3_mN6thrust23THRUST_200600_302600_NS17counting_iteratorIiNSA_11use_defaultESC_SC_EEPS6_NSA_18transform_iteratorINSA_8identityIiEENSA_6detail15normal_iteratorINSA_10device_ptrIiEEEESC_SC_EENS0_5tupleIJSM_S6_EEENSO_IJSE_SE_EEES6_PlJS6_EEE10hipError_tPvRmT3_T4_T5_T6_T7_T9_mT8_P12ihipStream_tbDpT10_ENKUlT_T0_E_clISt17integral_constantIbLb0EES1A_IbLb1EEEEDaS16_S17_EUlS16_E_NS1_11comp_targetILNS1_3genE3ELNS1_11target_archE908ELNS1_3gpuE7ELNS1_3repE0EEENS1_30default_config_static_selectorELNS0_4arch9wavefront6targetE1EEEvT1_
	.p2align	8
	.type	_ZN7rocprim17ROCPRIM_400000_NS6detail17trampoline_kernelINS0_14default_configENS1_25partition_config_selectorILNS1_17partition_subalgoE5EiNS0_10empty_typeEbEEZZNS1_14partition_implILS5_5ELb0ES3_mN6thrust23THRUST_200600_302600_NS17counting_iteratorIiNSA_11use_defaultESC_SC_EEPS6_NSA_18transform_iteratorINSA_8identityIiEENSA_6detail15normal_iteratorINSA_10device_ptrIiEEEESC_SC_EENS0_5tupleIJSM_S6_EEENSO_IJSE_SE_EEES6_PlJS6_EEE10hipError_tPvRmT3_T4_T5_T6_T7_T9_mT8_P12ihipStream_tbDpT10_ENKUlT_T0_E_clISt17integral_constantIbLb0EES1A_IbLb1EEEEDaS16_S17_EUlS16_E_NS1_11comp_targetILNS1_3genE3ELNS1_11target_archE908ELNS1_3gpuE7ELNS1_3repE0EEENS1_30default_config_static_selectorELNS0_4arch9wavefront6targetE1EEEvT1_,@function
_ZN7rocprim17ROCPRIM_400000_NS6detail17trampoline_kernelINS0_14default_configENS1_25partition_config_selectorILNS1_17partition_subalgoE5EiNS0_10empty_typeEbEEZZNS1_14partition_implILS5_5ELb0ES3_mN6thrust23THRUST_200600_302600_NS17counting_iteratorIiNSA_11use_defaultESC_SC_EEPS6_NSA_18transform_iteratorINSA_8identityIiEENSA_6detail15normal_iteratorINSA_10device_ptrIiEEEESC_SC_EENS0_5tupleIJSM_S6_EEENSO_IJSE_SE_EEES6_PlJS6_EEE10hipError_tPvRmT3_T4_T5_T6_T7_T9_mT8_P12ihipStream_tbDpT10_ENKUlT_T0_E_clISt17integral_constantIbLb0EES1A_IbLb1EEEEDaS16_S17_EUlS16_E_NS1_11comp_targetILNS1_3genE3ELNS1_11target_archE908ELNS1_3gpuE7ELNS1_3repE0EEENS1_30default_config_static_selectorELNS0_4arch9wavefront6targetE1EEEvT1_: ; @_ZN7rocprim17ROCPRIM_400000_NS6detail17trampoline_kernelINS0_14default_configENS1_25partition_config_selectorILNS1_17partition_subalgoE5EiNS0_10empty_typeEbEEZZNS1_14partition_implILS5_5ELb0ES3_mN6thrust23THRUST_200600_302600_NS17counting_iteratorIiNSA_11use_defaultESC_SC_EEPS6_NSA_18transform_iteratorINSA_8identityIiEENSA_6detail15normal_iteratorINSA_10device_ptrIiEEEESC_SC_EENS0_5tupleIJSM_S6_EEENSO_IJSE_SE_EEES6_PlJS6_EEE10hipError_tPvRmT3_T4_T5_T6_T7_T9_mT8_P12ihipStream_tbDpT10_ENKUlT_T0_E_clISt17integral_constantIbLb0EES1A_IbLb1EEEEDaS16_S17_EUlS16_E_NS1_11comp_targetILNS1_3genE3ELNS1_11target_archE908ELNS1_3gpuE7ELNS1_3repE0EEENS1_30default_config_static_selectorELNS0_4arch9wavefront6targetE1EEEvT1_
; %bb.0:
	.section	.rodata,"a",@progbits
	.p2align	6, 0x0
	.amdhsa_kernel _ZN7rocprim17ROCPRIM_400000_NS6detail17trampoline_kernelINS0_14default_configENS1_25partition_config_selectorILNS1_17partition_subalgoE5EiNS0_10empty_typeEbEEZZNS1_14partition_implILS5_5ELb0ES3_mN6thrust23THRUST_200600_302600_NS17counting_iteratorIiNSA_11use_defaultESC_SC_EEPS6_NSA_18transform_iteratorINSA_8identityIiEENSA_6detail15normal_iteratorINSA_10device_ptrIiEEEESC_SC_EENS0_5tupleIJSM_S6_EEENSO_IJSE_SE_EEES6_PlJS6_EEE10hipError_tPvRmT3_T4_T5_T6_T7_T9_mT8_P12ihipStream_tbDpT10_ENKUlT_T0_E_clISt17integral_constantIbLb0EES1A_IbLb1EEEEDaS16_S17_EUlS16_E_NS1_11comp_targetILNS1_3genE3ELNS1_11target_archE908ELNS1_3gpuE7ELNS1_3repE0EEENS1_30default_config_static_selectorELNS0_4arch9wavefront6targetE1EEEvT1_
		.amdhsa_group_segment_fixed_size 0
		.amdhsa_private_segment_fixed_size 0
		.amdhsa_kernarg_size 136
		.amdhsa_user_sgpr_count 6
		.amdhsa_user_sgpr_private_segment_buffer 1
		.amdhsa_user_sgpr_dispatch_ptr 0
		.amdhsa_user_sgpr_queue_ptr 0
		.amdhsa_user_sgpr_kernarg_segment_ptr 1
		.amdhsa_user_sgpr_dispatch_id 0
		.amdhsa_user_sgpr_flat_scratch_init 0
		.amdhsa_user_sgpr_kernarg_preload_length 0
		.amdhsa_user_sgpr_kernarg_preload_offset 0
		.amdhsa_user_sgpr_private_segment_size 0
		.amdhsa_uses_dynamic_stack 0
		.amdhsa_system_sgpr_private_segment_wavefront_offset 0
		.amdhsa_system_sgpr_workgroup_id_x 1
		.amdhsa_system_sgpr_workgroup_id_y 0
		.amdhsa_system_sgpr_workgroup_id_z 0
		.amdhsa_system_sgpr_workgroup_info 0
		.amdhsa_system_vgpr_workitem_id 0
		.amdhsa_next_free_vgpr 1
		.amdhsa_next_free_sgpr 0
		.amdhsa_accum_offset 4
		.amdhsa_reserve_vcc 0
		.amdhsa_reserve_flat_scratch 0
		.amdhsa_float_round_mode_32 0
		.amdhsa_float_round_mode_16_64 0
		.amdhsa_float_denorm_mode_32 3
		.amdhsa_float_denorm_mode_16_64 3
		.amdhsa_dx10_clamp 1
		.amdhsa_ieee_mode 1
		.amdhsa_fp16_overflow 0
		.amdhsa_tg_split 0
		.amdhsa_exception_fp_ieee_invalid_op 0
		.amdhsa_exception_fp_denorm_src 0
		.amdhsa_exception_fp_ieee_div_zero 0
		.amdhsa_exception_fp_ieee_overflow 0
		.amdhsa_exception_fp_ieee_underflow 0
		.amdhsa_exception_fp_ieee_inexact 0
		.amdhsa_exception_int_div_zero 0
	.end_amdhsa_kernel
	.section	.text._ZN7rocprim17ROCPRIM_400000_NS6detail17trampoline_kernelINS0_14default_configENS1_25partition_config_selectorILNS1_17partition_subalgoE5EiNS0_10empty_typeEbEEZZNS1_14partition_implILS5_5ELb0ES3_mN6thrust23THRUST_200600_302600_NS17counting_iteratorIiNSA_11use_defaultESC_SC_EEPS6_NSA_18transform_iteratorINSA_8identityIiEENSA_6detail15normal_iteratorINSA_10device_ptrIiEEEESC_SC_EENS0_5tupleIJSM_S6_EEENSO_IJSE_SE_EEES6_PlJS6_EEE10hipError_tPvRmT3_T4_T5_T6_T7_T9_mT8_P12ihipStream_tbDpT10_ENKUlT_T0_E_clISt17integral_constantIbLb0EES1A_IbLb1EEEEDaS16_S17_EUlS16_E_NS1_11comp_targetILNS1_3genE3ELNS1_11target_archE908ELNS1_3gpuE7ELNS1_3repE0EEENS1_30default_config_static_selectorELNS0_4arch9wavefront6targetE1EEEvT1_,"axG",@progbits,_ZN7rocprim17ROCPRIM_400000_NS6detail17trampoline_kernelINS0_14default_configENS1_25partition_config_selectorILNS1_17partition_subalgoE5EiNS0_10empty_typeEbEEZZNS1_14partition_implILS5_5ELb0ES3_mN6thrust23THRUST_200600_302600_NS17counting_iteratorIiNSA_11use_defaultESC_SC_EEPS6_NSA_18transform_iteratorINSA_8identityIiEENSA_6detail15normal_iteratorINSA_10device_ptrIiEEEESC_SC_EENS0_5tupleIJSM_S6_EEENSO_IJSE_SE_EEES6_PlJS6_EEE10hipError_tPvRmT3_T4_T5_T6_T7_T9_mT8_P12ihipStream_tbDpT10_ENKUlT_T0_E_clISt17integral_constantIbLb0EES1A_IbLb1EEEEDaS16_S17_EUlS16_E_NS1_11comp_targetILNS1_3genE3ELNS1_11target_archE908ELNS1_3gpuE7ELNS1_3repE0EEENS1_30default_config_static_selectorELNS0_4arch9wavefront6targetE1EEEvT1_,comdat
.Lfunc_end40:
	.size	_ZN7rocprim17ROCPRIM_400000_NS6detail17trampoline_kernelINS0_14default_configENS1_25partition_config_selectorILNS1_17partition_subalgoE5EiNS0_10empty_typeEbEEZZNS1_14partition_implILS5_5ELb0ES3_mN6thrust23THRUST_200600_302600_NS17counting_iteratorIiNSA_11use_defaultESC_SC_EEPS6_NSA_18transform_iteratorINSA_8identityIiEENSA_6detail15normal_iteratorINSA_10device_ptrIiEEEESC_SC_EENS0_5tupleIJSM_S6_EEENSO_IJSE_SE_EEES6_PlJS6_EEE10hipError_tPvRmT3_T4_T5_T6_T7_T9_mT8_P12ihipStream_tbDpT10_ENKUlT_T0_E_clISt17integral_constantIbLb0EES1A_IbLb1EEEEDaS16_S17_EUlS16_E_NS1_11comp_targetILNS1_3genE3ELNS1_11target_archE908ELNS1_3gpuE7ELNS1_3repE0EEENS1_30default_config_static_selectorELNS0_4arch9wavefront6targetE1EEEvT1_, .Lfunc_end40-_ZN7rocprim17ROCPRIM_400000_NS6detail17trampoline_kernelINS0_14default_configENS1_25partition_config_selectorILNS1_17partition_subalgoE5EiNS0_10empty_typeEbEEZZNS1_14partition_implILS5_5ELb0ES3_mN6thrust23THRUST_200600_302600_NS17counting_iteratorIiNSA_11use_defaultESC_SC_EEPS6_NSA_18transform_iteratorINSA_8identityIiEENSA_6detail15normal_iteratorINSA_10device_ptrIiEEEESC_SC_EENS0_5tupleIJSM_S6_EEENSO_IJSE_SE_EEES6_PlJS6_EEE10hipError_tPvRmT3_T4_T5_T6_T7_T9_mT8_P12ihipStream_tbDpT10_ENKUlT_T0_E_clISt17integral_constantIbLb0EES1A_IbLb1EEEEDaS16_S17_EUlS16_E_NS1_11comp_targetILNS1_3genE3ELNS1_11target_archE908ELNS1_3gpuE7ELNS1_3repE0EEENS1_30default_config_static_selectorELNS0_4arch9wavefront6targetE1EEEvT1_
                                        ; -- End function
	.section	.AMDGPU.csdata,"",@progbits
; Kernel info:
; codeLenInByte = 0
; NumSgprs: 4
; NumVgprs: 0
; NumAgprs: 0
; TotalNumVgprs: 0
; ScratchSize: 0
; MemoryBound: 0
; FloatMode: 240
; IeeeMode: 1
; LDSByteSize: 0 bytes/workgroup (compile time only)
; SGPRBlocks: 0
; VGPRBlocks: 0
; NumSGPRsForWavesPerEU: 4
; NumVGPRsForWavesPerEU: 1
; AccumOffset: 4
; Occupancy: 8
; WaveLimiterHint : 0
; COMPUTE_PGM_RSRC2:SCRATCH_EN: 0
; COMPUTE_PGM_RSRC2:USER_SGPR: 6
; COMPUTE_PGM_RSRC2:TRAP_HANDLER: 0
; COMPUTE_PGM_RSRC2:TGID_X_EN: 1
; COMPUTE_PGM_RSRC2:TGID_Y_EN: 0
; COMPUTE_PGM_RSRC2:TGID_Z_EN: 0
; COMPUTE_PGM_RSRC2:TIDIG_COMP_CNT: 0
; COMPUTE_PGM_RSRC3_GFX90A:ACCUM_OFFSET: 0
; COMPUTE_PGM_RSRC3_GFX90A:TG_SPLIT: 0
	.section	.text._ZN7rocprim17ROCPRIM_400000_NS6detail17trampoline_kernelINS0_14default_configENS1_25partition_config_selectorILNS1_17partition_subalgoE5EiNS0_10empty_typeEbEEZZNS1_14partition_implILS5_5ELb0ES3_mN6thrust23THRUST_200600_302600_NS17counting_iteratorIiNSA_11use_defaultESC_SC_EEPS6_NSA_18transform_iteratorINSA_8identityIiEENSA_6detail15normal_iteratorINSA_10device_ptrIiEEEESC_SC_EENS0_5tupleIJSM_S6_EEENSO_IJSE_SE_EEES6_PlJS6_EEE10hipError_tPvRmT3_T4_T5_T6_T7_T9_mT8_P12ihipStream_tbDpT10_ENKUlT_T0_E_clISt17integral_constantIbLb0EES1A_IbLb1EEEEDaS16_S17_EUlS16_E_NS1_11comp_targetILNS1_3genE2ELNS1_11target_archE906ELNS1_3gpuE6ELNS1_3repE0EEENS1_30default_config_static_selectorELNS0_4arch9wavefront6targetE1EEEvT1_,"axG",@progbits,_ZN7rocprim17ROCPRIM_400000_NS6detail17trampoline_kernelINS0_14default_configENS1_25partition_config_selectorILNS1_17partition_subalgoE5EiNS0_10empty_typeEbEEZZNS1_14partition_implILS5_5ELb0ES3_mN6thrust23THRUST_200600_302600_NS17counting_iteratorIiNSA_11use_defaultESC_SC_EEPS6_NSA_18transform_iteratorINSA_8identityIiEENSA_6detail15normal_iteratorINSA_10device_ptrIiEEEESC_SC_EENS0_5tupleIJSM_S6_EEENSO_IJSE_SE_EEES6_PlJS6_EEE10hipError_tPvRmT3_T4_T5_T6_T7_T9_mT8_P12ihipStream_tbDpT10_ENKUlT_T0_E_clISt17integral_constantIbLb0EES1A_IbLb1EEEEDaS16_S17_EUlS16_E_NS1_11comp_targetILNS1_3genE2ELNS1_11target_archE906ELNS1_3gpuE6ELNS1_3repE0EEENS1_30default_config_static_selectorELNS0_4arch9wavefront6targetE1EEEvT1_,comdat
	.protected	_ZN7rocprim17ROCPRIM_400000_NS6detail17trampoline_kernelINS0_14default_configENS1_25partition_config_selectorILNS1_17partition_subalgoE5EiNS0_10empty_typeEbEEZZNS1_14partition_implILS5_5ELb0ES3_mN6thrust23THRUST_200600_302600_NS17counting_iteratorIiNSA_11use_defaultESC_SC_EEPS6_NSA_18transform_iteratorINSA_8identityIiEENSA_6detail15normal_iteratorINSA_10device_ptrIiEEEESC_SC_EENS0_5tupleIJSM_S6_EEENSO_IJSE_SE_EEES6_PlJS6_EEE10hipError_tPvRmT3_T4_T5_T6_T7_T9_mT8_P12ihipStream_tbDpT10_ENKUlT_T0_E_clISt17integral_constantIbLb0EES1A_IbLb1EEEEDaS16_S17_EUlS16_E_NS1_11comp_targetILNS1_3genE2ELNS1_11target_archE906ELNS1_3gpuE6ELNS1_3repE0EEENS1_30default_config_static_selectorELNS0_4arch9wavefront6targetE1EEEvT1_ ; -- Begin function _ZN7rocprim17ROCPRIM_400000_NS6detail17trampoline_kernelINS0_14default_configENS1_25partition_config_selectorILNS1_17partition_subalgoE5EiNS0_10empty_typeEbEEZZNS1_14partition_implILS5_5ELb0ES3_mN6thrust23THRUST_200600_302600_NS17counting_iteratorIiNSA_11use_defaultESC_SC_EEPS6_NSA_18transform_iteratorINSA_8identityIiEENSA_6detail15normal_iteratorINSA_10device_ptrIiEEEESC_SC_EENS0_5tupleIJSM_S6_EEENSO_IJSE_SE_EEES6_PlJS6_EEE10hipError_tPvRmT3_T4_T5_T6_T7_T9_mT8_P12ihipStream_tbDpT10_ENKUlT_T0_E_clISt17integral_constantIbLb0EES1A_IbLb1EEEEDaS16_S17_EUlS16_E_NS1_11comp_targetILNS1_3genE2ELNS1_11target_archE906ELNS1_3gpuE6ELNS1_3repE0EEENS1_30default_config_static_selectorELNS0_4arch9wavefront6targetE1EEEvT1_
	.globl	_ZN7rocprim17ROCPRIM_400000_NS6detail17trampoline_kernelINS0_14default_configENS1_25partition_config_selectorILNS1_17partition_subalgoE5EiNS0_10empty_typeEbEEZZNS1_14partition_implILS5_5ELb0ES3_mN6thrust23THRUST_200600_302600_NS17counting_iteratorIiNSA_11use_defaultESC_SC_EEPS6_NSA_18transform_iteratorINSA_8identityIiEENSA_6detail15normal_iteratorINSA_10device_ptrIiEEEESC_SC_EENS0_5tupleIJSM_S6_EEENSO_IJSE_SE_EEES6_PlJS6_EEE10hipError_tPvRmT3_T4_T5_T6_T7_T9_mT8_P12ihipStream_tbDpT10_ENKUlT_T0_E_clISt17integral_constantIbLb0EES1A_IbLb1EEEEDaS16_S17_EUlS16_E_NS1_11comp_targetILNS1_3genE2ELNS1_11target_archE906ELNS1_3gpuE6ELNS1_3repE0EEENS1_30default_config_static_selectorELNS0_4arch9wavefront6targetE1EEEvT1_
	.p2align	8
	.type	_ZN7rocprim17ROCPRIM_400000_NS6detail17trampoline_kernelINS0_14default_configENS1_25partition_config_selectorILNS1_17partition_subalgoE5EiNS0_10empty_typeEbEEZZNS1_14partition_implILS5_5ELb0ES3_mN6thrust23THRUST_200600_302600_NS17counting_iteratorIiNSA_11use_defaultESC_SC_EEPS6_NSA_18transform_iteratorINSA_8identityIiEENSA_6detail15normal_iteratorINSA_10device_ptrIiEEEESC_SC_EENS0_5tupleIJSM_S6_EEENSO_IJSE_SE_EEES6_PlJS6_EEE10hipError_tPvRmT3_T4_T5_T6_T7_T9_mT8_P12ihipStream_tbDpT10_ENKUlT_T0_E_clISt17integral_constantIbLb0EES1A_IbLb1EEEEDaS16_S17_EUlS16_E_NS1_11comp_targetILNS1_3genE2ELNS1_11target_archE906ELNS1_3gpuE6ELNS1_3repE0EEENS1_30default_config_static_selectorELNS0_4arch9wavefront6targetE1EEEvT1_,@function
_ZN7rocprim17ROCPRIM_400000_NS6detail17trampoline_kernelINS0_14default_configENS1_25partition_config_selectorILNS1_17partition_subalgoE5EiNS0_10empty_typeEbEEZZNS1_14partition_implILS5_5ELb0ES3_mN6thrust23THRUST_200600_302600_NS17counting_iteratorIiNSA_11use_defaultESC_SC_EEPS6_NSA_18transform_iteratorINSA_8identityIiEENSA_6detail15normal_iteratorINSA_10device_ptrIiEEEESC_SC_EENS0_5tupleIJSM_S6_EEENSO_IJSE_SE_EEES6_PlJS6_EEE10hipError_tPvRmT3_T4_T5_T6_T7_T9_mT8_P12ihipStream_tbDpT10_ENKUlT_T0_E_clISt17integral_constantIbLb0EES1A_IbLb1EEEEDaS16_S17_EUlS16_E_NS1_11comp_targetILNS1_3genE2ELNS1_11target_archE906ELNS1_3gpuE6ELNS1_3repE0EEENS1_30default_config_static_selectorELNS0_4arch9wavefront6targetE1EEEvT1_: ; @_ZN7rocprim17ROCPRIM_400000_NS6detail17trampoline_kernelINS0_14default_configENS1_25partition_config_selectorILNS1_17partition_subalgoE5EiNS0_10empty_typeEbEEZZNS1_14partition_implILS5_5ELb0ES3_mN6thrust23THRUST_200600_302600_NS17counting_iteratorIiNSA_11use_defaultESC_SC_EEPS6_NSA_18transform_iteratorINSA_8identityIiEENSA_6detail15normal_iteratorINSA_10device_ptrIiEEEESC_SC_EENS0_5tupleIJSM_S6_EEENSO_IJSE_SE_EEES6_PlJS6_EEE10hipError_tPvRmT3_T4_T5_T6_T7_T9_mT8_P12ihipStream_tbDpT10_ENKUlT_T0_E_clISt17integral_constantIbLb0EES1A_IbLb1EEEEDaS16_S17_EUlS16_E_NS1_11comp_targetILNS1_3genE2ELNS1_11target_archE906ELNS1_3gpuE6ELNS1_3repE0EEENS1_30default_config_static_selectorELNS0_4arch9wavefront6targetE1EEEvT1_
; %bb.0:
	.section	.rodata,"a",@progbits
	.p2align	6, 0x0
	.amdhsa_kernel _ZN7rocprim17ROCPRIM_400000_NS6detail17trampoline_kernelINS0_14default_configENS1_25partition_config_selectorILNS1_17partition_subalgoE5EiNS0_10empty_typeEbEEZZNS1_14partition_implILS5_5ELb0ES3_mN6thrust23THRUST_200600_302600_NS17counting_iteratorIiNSA_11use_defaultESC_SC_EEPS6_NSA_18transform_iteratorINSA_8identityIiEENSA_6detail15normal_iteratorINSA_10device_ptrIiEEEESC_SC_EENS0_5tupleIJSM_S6_EEENSO_IJSE_SE_EEES6_PlJS6_EEE10hipError_tPvRmT3_T4_T5_T6_T7_T9_mT8_P12ihipStream_tbDpT10_ENKUlT_T0_E_clISt17integral_constantIbLb0EES1A_IbLb1EEEEDaS16_S17_EUlS16_E_NS1_11comp_targetILNS1_3genE2ELNS1_11target_archE906ELNS1_3gpuE6ELNS1_3repE0EEENS1_30default_config_static_selectorELNS0_4arch9wavefront6targetE1EEEvT1_
		.amdhsa_group_segment_fixed_size 0
		.amdhsa_private_segment_fixed_size 0
		.amdhsa_kernarg_size 136
		.amdhsa_user_sgpr_count 6
		.amdhsa_user_sgpr_private_segment_buffer 1
		.amdhsa_user_sgpr_dispatch_ptr 0
		.amdhsa_user_sgpr_queue_ptr 0
		.amdhsa_user_sgpr_kernarg_segment_ptr 1
		.amdhsa_user_sgpr_dispatch_id 0
		.amdhsa_user_sgpr_flat_scratch_init 0
		.amdhsa_user_sgpr_kernarg_preload_length 0
		.amdhsa_user_sgpr_kernarg_preload_offset 0
		.amdhsa_user_sgpr_private_segment_size 0
		.amdhsa_uses_dynamic_stack 0
		.amdhsa_system_sgpr_private_segment_wavefront_offset 0
		.amdhsa_system_sgpr_workgroup_id_x 1
		.amdhsa_system_sgpr_workgroup_id_y 0
		.amdhsa_system_sgpr_workgroup_id_z 0
		.amdhsa_system_sgpr_workgroup_info 0
		.amdhsa_system_vgpr_workitem_id 0
		.amdhsa_next_free_vgpr 1
		.amdhsa_next_free_sgpr 0
		.amdhsa_accum_offset 4
		.amdhsa_reserve_vcc 0
		.amdhsa_reserve_flat_scratch 0
		.amdhsa_float_round_mode_32 0
		.amdhsa_float_round_mode_16_64 0
		.amdhsa_float_denorm_mode_32 3
		.amdhsa_float_denorm_mode_16_64 3
		.amdhsa_dx10_clamp 1
		.amdhsa_ieee_mode 1
		.amdhsa_fp16_overflow 0
		.amdhsa_tg_split 0
		.amdhsa_exception_fp_ieee_invalid_op 0
		.amdhsa_exception_fp_denorm_src 0
		.amdhsa_exception_fp_ieee_div_zero 0
		.amdhsa_exception_fp_ieee_overflow 0
		.amdhsa_exception_fp_ieee_underflow 0
		.amdhsa_exception_fp_ieee_inexact 0
		.amdhsa_exception_int_div_zero 0
	.end_amdhsa_kernel
	.section	.text._ZN7rocprim17ROCPRIM_400000_NS6detail17trampoline_kernelINS0_14default_configENS1_25partition_config_selectorILNS1_17partition_subalgoE5EiNS0_10empty_typeEbEEZZNS1_14partition_implILS5_5ELb0ES3_mN6thrust23THRUST_200600_302600_NS17counting_iteratorIiNSA_11use_defaultESC_SC_EEPS6_NSA_18transform_iteratorINSA_8identityIiEENSA_6detail15normal_iteratorINSA_10device_ptrIiEEEESC_SC_EENS0_5tupleIJSM_S6_EEENSO_IJSE_SE_EEES6_PlJS6_EEE10hipError_tPvRmT3_T4_T5_T6_T7_T9_mT8_P12ihipStream_tbDpT10_ENKUlT_T0_E_clISt17integral_constantIbLb0EES1A_IbLb1EEEEDaS16_S17_EUlS16_E_NS1_11comp_targetILNS1_3genE2ELNS1_11target_archE906ELNS1_3gpuE6ELNS1_3repE0EEENS1_30default_config_static_selectorELNS0_4arch9wavefront6targetE1EEEvT1_,"axG",@progbits,_ZN7rocprim17ROCPRIM_400000_NS6detail17trampoline_kernelINS0_14default_configENS1_25partition_config_selectorILNS1_17partition_subalgoE5EiNS0_10empty_typeEbEEZZNS1_14partition_implILS5_5ELb0ES3_mN6thrust23THRUST_200600_302600_NS17counting_iteratorIiNSA_11use_defaultESC_SC_EEPS6_NSA_18transform_iteratorINSA_8identityIiEENSA_6detail15normal_iteratorINSA_10device_ptrIiEEEESC_SC_EENS0_5tupleIJSM_S6_EEENSO_IJSE_SE_EEES6_PlJS6_EEE10hipError_tPvRmT3_T4_T5_T6_T7_T9_mT8_P12ihipStream_tbDpT10_ENKUlT_T0_E_clISt17integral_constantIbLb0EES1A_IbLb1EEEEDaS16_S17_EUlS16_E_NS1_11comp_targetILNS1_3genE2ELNS1_11target_archE906ELNS1_3gpuE6ELNS1_3repE0EEENS1_30default_config_static_selectorELNS0_4arch9wavefront6targetE1EEEvT1_,comdat
.Lfunc_end41:
	.size	_ZN7rocprim17ROCPRIM_400000_NS6detail17trampoline_kernelINS0_14default_configENS1_25partition_config_selectorILNS1_17partition_subalgoE5EiNS0_10empty_typeEbEEZZNS1_14partition_implILS5_5ELb0ES3_mN6thrust23THRUST_200600_302600_NS17counting_iteratorIiNSA_11use_defaultESC_SC_EEPS6_NSA_18transform_iteratorINSA_8identityIiEENSA_6detail15normal_iteratorINSA_10device_ptrIiEEEESC_SC_EENS0_5tupleIJSM_S6_EEENSO_IJSE_SE_EEES6_PlJS6_EEE10hipError_tPvRmT3_T4_T5_T6_T7_T9_mT8_P12ihipStream_tbDpT10_ENKUlT_T0_E_clISt17integral_constantIbLb0EES1A_IbLb1EEEEDaS16_S17_EUlS16_E_NS1_11comp_targetILNS1_3genE2ELNS1_11target_archE906ELNS1_3gpuE6ELNS1_3repE0EEENS1_30default_config_static_selectorELNS0_4arch9wavefront6targetE1EEEvT1_, .Lfunc_end41-_ZN7rocprim17ROCPRIM_400000_NS6detail17trampoline_kernelINS0_14default_configENS1_25partition_config_selectorILNS1_17partition_subalgoE5EiNS0_10empty_typeEbEEZZNS1_14partition_implILS5_5ELb0ES3_mN6thrust23THRUST_200600_302600_NS17counting_iteratorIiNSA_11use_defaultESC_SC_EEPS6_NSA_18transform_iteratorINSA_8identityIiEENSA_6detail15normal_iteratorINSA_10device_ptrIiEEEESC_SC_EENS0_5tupleIJSM_S6_EEENSO_IJSE_SE_EEES6_PlJS6_EEE10hipError_tPvRmT3_T4_T5_T6_T7_T9_mT8_P12ihipStream_tbDpT10_ENKUlT_T0_E_clISt17integral_constantIbLb0EES1A_IbLb1EEEEDaS16_S17_EUlS16_E_NS1_11comp_targetILNS1_3genE2ELNS1_11target_archE906ELNS1_3gpuE6ELNS1_3repE0EEENS1_30default_config_static_selectorELNS0_4arch9wavefront6targetE1EEEvT1_
                                        ; -- End function
	.section	.AMDGPU.csdata,"",@progbits
; Kernel info:
; codeLenInByte = 0
; NumSgprs: 4
; NumVgprs: 0
; NumAgprs: 0
; TotalNumVgprs: 0
; ScratchSize: 0
; MemoryBound: 0
; FloatMode: 240
; IeeeMode: 1
; LDSByteSize: 0 bytes/workgroup (compile time only)
; SGPRBlocks: 0
; VGPRBlocks: 0
; NumSGPRsForWavesPerEU: 4
; NumVGPRsForWavesPerEU: 1
; AccumOffset: 4
; Occupancy: 8
; WaveLimiterHint : 0
; COMPUTE_PGM_RSRC2:SCRATCH_EN: 0
; COMPUTE_PGM_RSRC2:USER_SGPR: 6
; COMPUTE_PGM_RSRC2:TRAP_HANDLER: 0
; COMPUTE_PGM_RSRC2:TGID_X_EN: 1
; COMPUTE_PGM_RSRC2:TGID_Y_EN: 0
; COMPUTE_PGM_RSRC2:TGID_Z_EN: 0
; COMPUTE_PGM_RSRC2:TIDIG_COMP_CNT: 0
; COMPUTE_PGM_RSRC3_GFX90A:ACCUM_OFFSET: 0
; COMPUTE_PGM_RSRC3_GFX90A:TG_SPLIT: 0
	.section	.text._ZN7rocprim17ROCPRIM_400000_NS6detail17trampoline_kernelINS0_14default_configENS1_25partition_config_selectorILNS1_17partition_subalgoE5EiNS0_10empty_typeEbEEZZNS1_14partition_implILS5_5ELb0ES3_mN6thrust23THRUST_200600_302600_NS17counting_iteratorIiNSA_11use_defaultESC_SC_EEPS6_NSA_18transform_iteratorINSA_8identityIiEENSA_6detail15normal_iteratorINSA_10device_ptrIiEEEESC_SC_EENS0_5tupleIJSM_S6_EEENSO_IJSE_SE_EEES6_PlJS6_EEE10hipError_tPvRmT3_T4_T5_T6_T7_T9_mT8_P12ihipStream_tbDpT10_ENKUlT_T0_E_clISt17integral_constantIbLb0EES1A_IbLb1EEEEDaS16_S17_EUlS16_E_NS1_11comp_targetILNS1_3genE10ELNS1_11target_archE1200ELNS1_3gpuE4ELNS1_3repE0EEENS1_30default_config_static_selectorELNS0_4arch9wavefront6targetE1EEEvT1_,"axG",@progbits,_ZN7rocprim17ROCPRIM_400000_NS6detail17trampoline_kernelINS0_14default_configENS1_25partition_config_selectorILNS1_17partition_subalgoE5EiNS0_10empty_typeEbEEZZNS1_14partition_implILS5_5ELb0ES3_mN6thrust23THRUST_200600_302600_NS17counting_iteratorIiNSA_11use_defaultESC_SC_EEPS6_NSA_18transform_iteratorINSA_8identityIiEENSA_6detail15normal_iteratorINSA_10device_ptrIiEEEESC_SC_EENS0_5tupleIJSM_S6_EEENSO_IJSE_SE_EEES6_PlJS6_EEE10hipError_tPvRmT3_T4_T5_T6_T7_T9_mT8_P12ihipStream_tbDpT10_ENKUlT_T0_E_clISt17integral_constantIbLb0EES1A_IbLb1EEEEDaS16_S17_EUlS16_E_NS1_11comp_targetILNS1_3genE10ELNS1_11target_archE1200ELNS1_3gpuE4ELNS1_3repE0EEENS1_30default_config_static_selectorELNS0_4arch9wavefront6targetE1EEEvT1_,comdat
	.protected	_ZN7rocprim17ROCPRIM_400000_NS6detail17trampoline_kernelINS0_14default_configENS1_25partition_config_selectorILNS1_17partition_subalgoE5EiNS0_10empty_typeEbEEZZNS1_14partition_implILS5_5ELb0ES3_mN6thrust23THRUST_200600_302600_NS17counting_iteratorIiNSA_11use_defaultESC_SC_EEPS6_NSA_18transform_iteratorINSA_8identityIiEENSA_6detail15normal_iteratorINSA_10device_ptrIiEEEESC_SC_EENS0_5tupleIJSM_S6_EEENSO_IJSE_SE_EEES6_PlJS6_EEE10hipError_tPvRmT3_T4_T5_T6_T7_T9_mT8_P12ihipStream_tbDpT10_ENKUlT_T0_E_clISt17integral_constantIbLb0EES1A_IbLb1EEEEDaS16_S17_EUlS16_E_NS1_11comp_targetILNS1_3genE10ELNS1_11target_archE1200ELNS1_3gpuE4ELNS1_3repE0EEENS1_30default_config_static_selectorELNS0_4arch9wavefront6targetE1EEEvT1_ ; -- Begin function _ZN7rocprim17ROCPRIM_400000_NS6detail17trampoline_kernelINS0_14default_configENS1_25partition_config_selectorILNS1_17partition_subalgoE5EiNS0_10empty_typeEbEEZZNS1_14partition_implILS5_5ELb0ES3_mN6thrust23THRUST_200600_302600_NS17counting_iteratorIiNSA_11use_defaultESC_SC_EEPS6_NSA_18transform_iteratorINSA_8identityIiEENSA_6detail15normal_iteratorINSA_10device_ptrIiEEEESC_SC_EENS0_5tupleIJSM_S6_EEENSO_IJSE_SE_EEES6_PlJS6_EEE10hipError_tPvRmT3_T4_T5_T6_T7_T9_mT8_P12ihipStream_tbDpT10_ENKUlT_T0_E_clISt17integral_constantIbLb0EES1A_IbLb1EEEEDaS16_S17_EUlS16_E_NS1_11comp_targetILNS1_3genE10ELNS1_11target_archE1200ELNS1_3gpuE4ELNS1_3repE0EEENS1_30default_config_static_selectorELNS0_4arch9wavefront6targetE1EEEvT1_
	.globl	_ZN7rocprim17ROCPRIM_400000_NS6detail17trampoline_kernelINS0_14default_configENS1_25partition_config_selectorILNS1_17partition_subalgoE5EiNS0_10empty_typeEbEEZZNS1_14partition_implILS5_5ELb0ES3_mN6thrust23THRUST_200600_302600_NS17counting_iteratorIiNSA_11use_defaultESC_SC_EEPS6_NSA_18transform_iteratorINSA_8identityIiEENSA_6detail15normal_iteratorINSA_10device_ptrIiEEEESC_SC_EENS0_5tupleIJSM_S6_EEENSO_IJSE_SE_EEES6_PlJS6_EEE10hipError_tPvRmT3_T4_T5_T6_T7_T9_mT8_P12ihipStream_tbDpT10_ENKUlT_T0_E_clISt17integral_constantIbLb0EES1A_IbLb1EEEEDaS16_S17_EUlS16_E_NS1_11comp_targetILNS1_3genE10ELNS1_11target_archE1200ELNS1_3gpuE4ELNS1_3repE0EEENS1_30default_config_static_selectorELNS0_4arch9wavefront6targetE1EEEvT1_
	.p2align	8
	.type	_ZN7rocprim17ROCPRIM_400000_NS6detail17trampoline_kernelINS0_14default_configENS1_25partition_config_selectorILNS1_17partition_subalgoE5EiNS0_10empty_typeEbEEZZNS1_14partition_implILS5_5ELb0ES3_mN6thrust23THRUST_200600_302600_NS17counting_iteratorIiNSA_11use_defaultESC_SC_EEPS6_NSA_18transform_iteratorINSA_8identityIiEENSA_6detail15normal_iteratorINSA_10device_ptrIiEEEESC_SC_EENS0_5tupleIJSM_S6_EEENSO_IJSE_SE_EEES6_PlJS6_EEE10hipError_tPvRmT3_T4_T5_T6_T7_T9_mT8_P12ihipStream_tbDpT10_ENKUlT_T0_E_clISt17integral_constantIbLb0EES1A_IbLb1EEEEDaS16_S17_EUlS16_E_NS1_11comp_targetILNS1_3genE10ELNS1_11target_archE1200ELNS1_3gpuE4ELNS1_3repE0EEENS1_30default_config_static_selectorELNS0_4arch9wavefront6targetE1EEEvT1_,@function
_ZN7rocprim17ROCPRIM_400000_NS6detail17trampoline_kernelINS0_14default_configENS1_25partition_config_selectorILNS1_17partition_subalgoE5EiNS0_10empty_typeEbEEZZNS1_14partition_implILS5_5ELb0ES3_mN6thrust23THRUST_200600_302600_NS17counting_iteratorIiNSA_11use_defaultESC_SC_EEPS6_NSA_18transform_iteratorINSA_8identityIiEENSA_6detail15normal_iteratorINSA_10device_ptrIiEEEESC_SC_EENS0_5tupleIJSM_S6_EEENSO_IJSE_SE_EEES6_PlJS6_EEE10hipError_tPvRmT3_T4_T5_T6_T7_T9_mT8_P12ihipStream_tbDpT10_ENKUlT_T0_E_clISt17integral_constantIbLb0EES1A_IbLb1EEEEDaS16_S17_EUlS16_E_NS1_11comp_targetILNS1_3genE10ELNS1_11target_archE1200ELNS1_3gpuE4ELNS1_3repE0EEENS1_30default_config_static_selectorELNS0_4arch9wavefront6targetE1EEEvT1_: ; @_ZN7rocprim17ROCPRIM_400000_NS6detail17trampoline_kernelINS0_14default_configENS1_25partition_config_selectorILNS1_17partition_subalgoE5EiNS0_10empty_typeEbEEZZNS1_14partition_implILS5_5ELb0ES3_mN6thrust23THRUST_200600_302600_NS17counting_iteratorIiNSA_11use_defaultESC_SC_EEPS6_NSA_18transform_iteratorINSA_8identityIiEENSA_6detail15normal_iteratorINSA_10device_ptrIiEEEESC_SC_EENS0_5tupleIJSM_S6_EEENSO_IJSE_SE_EEES6_PlJS6_EEE10hipError_tPvRmT3_T4_T5_T6_T7_T9_mT8_P12ihipStream_tbDpT10_ENKUlT_T0_E_clISt17integral_constantIbLb0EES1A_IbLb1EEEEDaS16_S17_EUlS16_E_NS1_11comp_targetILNS1_3genE10ELNS1_11target_archE1200ELNS1_3gpuE4ELNS1_3repE0EEENS1_30default_config_static_selectorELNS0_4arch9wavefront6targetE1EEEvT1_
; %bb.0:
	.section	.rodata,"a",@progbits
	.p2align	6, 0x0
	.amdhsa_kernel _ZN7rocprim17ROCPRIM_400000_NS6detail17trampoline_kernelINS0_14default_configENS1_25partition_config_selectorILNS1_17partition_subalgoE5EiNS0_10empty_typeEbEEZZNS1_14partition_implILS5_5ELb0ES3_mN6thrust23THRUST_200600_302600_NS17counting_iteratorIiNSA_11use_defaultESC_SC_EEPS6_NSA_18transform_iteratorINSA_8identityIiEENSA_6detail15normal_iteratorINSA_10device_ptrIiEEEESC_SC_EENS0_5tupleIJSM_S6_EEENSO_IJSE_SE_EEES6_PlJS6_EEE10hipError_tPvRmT3_T4_T5_T6_T7_T9_mT8_P12ihipStream_tbDpT10_ENKUlT_T0_E_clISt17integral_constantIbLb0EES1A_IbLb1EEEEDaS16_S17_EUlS16_E_NS1_11comp_targetILNS1_3genE10ELNS1_11target_archE1200ELNS1_3gpuE4ELNS1_3repE0EEENS1_30default_config_static_selectorELNS0_4arch9wavefront6targetE1EEEvT1_
		.amdhsa_group_segment_fixed_size 0
		.amdhsa_private_segment_fixed_size 0
		.amdhsa_kernarg_size 136
		.amdhsa_user_sgpr_count 6
		.amdhsa_user_sgpr_private_segment_buffer 1
		.amdhsa_user_sgpr_dispatch_ptr 0
		.amdhsa_user_sgpr_queue_ptr 0
		.amdhsa_user_sgpr_kernarg_segment_ptr 1
		.amdhsa_user_sgpr_dispatch_id 0
		.amdhsa_user_sgpr_flat_scratch_init 0
		.amdhsa_user_sgpr_kernarg_preload_length 0
		.amdhsa_user_sgpr_kernarg_preload_offset 0
		.amdhsa_user_sgpr_private_segment_size 0
		.amdhsa_uses_dynamic_stack 0
		.amdhsa_system_sgpr_private_segment_wavefront_offset 0
		.amdhsa_system_sgpr_workgroup_id_x 1
		.amdhsa_system_sgpr_workgroup_id_y 0
		.amdhsa_system_sgpr_workgroup_id_z 0
		.amdhsa_system_sgpr_workgroup_info 0
		.amdhsa_system_vgpr_workitem_id 0
		.amdhsa_next_free_vgpr 1
		.amdhsa_next_free_sgpr 0
		.amdhsa_accum_offset 4
		.amdhsa_reserve_vcc 0
		.amdhsa_reserve_flat_scratch 0
		.amdhsa_float_round_mode_32 0
		.amdhsa_float_round_mode_16_64 0
		.amdhsa_float_denorm_mode_32 3
		.amdhsa_float_denorm_mode_16_64 3
		.amdhsa_dx10_clamp 1
		.amdhsa_ieee_mode 1
		.amdhsa_fp16_overflow 0
		.amdhsa_tg_split 0
		.amdhsa_exception_fp_ieee_invalid_op 0
		.amdhsa_exception_fp_denorm_src 0
		.amdhsa_exception_fp_ieee_div_zero 0
		.amdhsa_exception_fp_ieee_overflow 0
		.amdhsa_exception_fp_ieee_underflow 0
		.amdhsa_exception_fp_ieee_inexact 0
		.amdhsa_exception_int_div_zero 0
	.end_amdhsa_kernel
	.section	.text._ZN7rocprim17ROCPRIM_400000_NS6detail17trampoline_kernelINS0_14default_configENS1_25partition_config_selectorILNS1_17partition_subalgoE5EiNS0_10empty_typeEbEEZZNS1_14partition_implILS5_5ELb0ES3_mN6thrust23THRUST_200600_302600_NS17counting_iteratorIiNSA_11use_defaultESC_SC_EEPS6_NSA_18transform_iteratorINSA_8identityIiEENSA_6detail15normal_iteratorINSA_10device_ptrIiEEEESC_SC_EENS0_5tupleIJSM_S6_EEENSO_IJSE_SE_EEES6_PlJS6_EEE10hipError_tPvRmT3_T4_T5_T6_T7_T9_mT8_P12ihipStream_tbDpT10_ENKUlT_T0_E_clISt17integral_constantIbLb0EES1A_IbLb1EEEEDaS16_S17_EUlS16_E_NS1_11comp_targetILNS1_3genE10ELNS1_11target_archE1200ELNS1_3gpuE4ELNS1_3repE0EEENS1_30default_config_static_selectorELNS0_4arch9wavefront6targetE1EEEvT1_,"axG",@progbits,_ZN7rocprim17ROCPRIM_400000_NS6detail17trampoline_kernelINS0_14default_configENS1_25partition_config_selectorILNS1_17partition_subalgoE5EiNS0_10empty_typeEbEEZZNS1_14partition_implILS5_5ELb0ES3_mN6thrust23THRUST_200600_302600_NS17counting_iteratorIiNSA_11use_defaultESC_SC_EEPS6_NSA_18transform_iteratorINSA_8identityIiEENSA_6detail15normal_iteratorINSA_10device_ptrIiEEEESC_SC_EENS0_5tupleIJSM_S6_EEENSO_IJSE_SE_EEES6_PlJS6_EEE10hipError_tPvRmT3_T4_T5_T6_T7_T9_mT8_P12ihipStream_tbDpT10_ENKUlT_T0_E_clISt17integral_constantIbLb0EES1A_IbLb1EEEEDaS16_S17_EUlS16_E_NS1_11comp_targetILNS1_3genE10ELNS1_11target_archE1200ELNS1_3gpuE4ELNS1_3repE0EEENS1_30default_config_static_selectorELNS0_4arch9wavefront6targetE1EEEvT1_,comdat
.Lfunc_end42:
	.size	_ZN7rocprim17ROCPRIM_400000_NS6detail17trampoline_kernelINS0_14default_configENS1_25partition_config_selectorILNS1_17partition_subalgoE5EiNS0_10empty_typeEbEEZZNS1_14partition_implILS5_5ELb0ES3_mN6thrust23THRUST_200600_302600_NS17counting_iteratorIiNSA_11use_defaultESC_SC_EEPS6_NSA_18transform_iteratorINSA_8identityIiEENSA_6detail15normal_iteratorINSA_10device_ptrIiEEEESC_SC_EENS0_5tupleIJSM_S6_EEENSO_IJSE_SE_EEES6_PlJS6_EEE10hipError_tPvRmT3_T4_T5_T6_T7_T9_mT8_P12ihipStream_tbDpT10_ENKUlT_T0_E_clISt17integral_constantIbLb0EES1A_IbLb1EEEEDaS16_S17_EUlS16_E_NS1_11comp_targetILNS1_3genE10ELNS1_11target_archE1200ELNS1_3gpuE4ELNS1_3repE0EEENS1_30default_config_static_selectorELNS0_4arch9wavefront6targetE1EEEvT1_, .Lfunc_end42-_ZN7rocprim17ROCPRIM_400000_NS6detail17trampoline_kernelINS0_14default_configENS1_25partition_config_selectorILNS1_17partition_subalgoE5EiNS0_10empty_typeEbEEZZNS1_14partition_implILS5_5ELb0ES3_mN6thrust23THRUST_200600_302600_NS17counting_iteratorIiNSA_11use_defaultESC_SC_EEPS6_NSA_18transform_iteratorINSA_8identityIiEENSA_6detail15normal_iteratorINSA_10device_ptrIiEEEESC_SC_EENS0_5tupleIJSM_S6_EEENSO_IJSE_SE_EEES6_PlJS6_EEE10hipError_tPvRmT3_T4_T5_T6_T7_T9_mT8_P12ihipStream_tbDpT10_ENKUlT_T0_E_clISt17integral_constantIbLb0EES1A_IbLb1EEEEDaS16_S17_EUlS16_E_NS1_11comp_targetILNS1_3genE10ELNS1_11target_archE1200ELNS1_3gpuE4ELNS1_3repE0EEENS1_30default_config_static_selectorELNS0_4arch9wavefront6targetE1EEEvT1_
                                        ; -- End function
	.section	.AMDGPU.csdata,"",@progbits
; Kernel info:
; codeLenInByte = 0
; NumSgprs: 4
; NumVgprs: 0
; NumAgprs: 0
; TotalNumVgprs: 0
; ScratchSize: 0
; MemoryBound: 0
; FloatMode: 240
; IeeeMode: 1
; LDSByteSize: 0 bytes/workgroup (compile time only)
; SGPRBlocks: 0
; VGPRBlocks: 0
; NumSGPRsForWavesPerEU: 4
; NumVGPRsForWavesPerEU: 1
; AccumOffset: 4
; Occupancy: 8
; WaveLimiterHint : 0
; COMPUTE_PGM_RSRC2:SCRATCH_EN: 0
; COMPUTE_PGM_RSRC2:USER_SGPR: 6
; COMPUTE_PGM_RSRC2:TRAP_HANDLER: 0
; COMPUTE_PGM_RSRC2:TGID_X_EN: 1
; COMPUTE_PGM_RSRC2:TGID_Y_EN: 0
; COMPUTE_PGM_RSRC2:TGID_Z_EN: 0
; COMPUTE_PGM_RSRC2:TIDIG_COMP_CNT: 0
; COMPUTE_PGM_RSRC3_GFX90A:ACCUM_OFFSET: 0
; COMPUTE_PGM_RSRC3_GFX90A:TG_SPLIT: 0
	.section	.text._ZN7rocprim17ROCPRIM_400000_NS6detail17trampoline_kernelINS0_14default_configENS1_25partition_config_selectorILNS1_17partition_subalgoE5EiNS0_10empty_typeEbEEZZNS1_14partition_implILS5_5ELb0ES3_mN6thrust23THRUST_200600_302600_NS17counting_iteratorIiNSA_11use_defaultESC_SC_EEPS6_NSA_18transform_iteratorINSA_8identityIiEENSA_6detail15normal_iteratorINSA_10device_ptrIiEEEESC_SC_EENS0_5tupleIJSM_S6_EEENSO_IJSE_SE_EEES6_PlJS6_EEE10hipError_tPvRmT3_T4_T5_T6_T7_T9_mT8_P12ihipStream_tbDpT10_ENKUlT_T0_E_clISt17integral_constantIbLb0EES1A_IbLb1EEEEDaS16_S17_EUlS16_E_NS1_11comp_targetILNS1_3genE9ELNS1_11target_archE1100ELNS1_3gpuE3ELNS1_3repE0EEENS1_30default_config_static_selectorELNS0_4arch9wavefront6targetE1EEEvT1_,"axG",@progbits,_ZN7rocprim17ROCPRIM_400000_NS6detail17trampoline_kernelINS0_14default_configENS1_25partition_config_selectorILNS1_17partition_subalgoE5EiNS0_10empty_typeEbEEZZNS1_14partition_implILS5_5ELb0ES3_mN6thrust23THRUST_200600_302600_NS17counting_iteratorIiNSA_11use_defaultESC_SC_EEPS6_NSA_18transform_iteratorINSA_8identityIiEENSA_6detail15normal_iteratorINSA_10device_ptrIiEEEESC_SC_EENS0_5tupleIJSM_S6_EEENSO_IJSE_SE_EEES6_PlJS6_EEE10hipError_tPvRmT3_T4_T5_T6_T7_T9_mT8_P12ihipStream_tbDpT10_ENKUlT_T0_E_clISt17integral_constantIbLb0EES1A_IbLb1EEEEDaS16_S17_EUlS16_E_NS1_11comp_targetILNS1_3genE9ELNS1_11target_archE1100ELNS1_3gpuE3ELNS1_3repE0EEENS1_30default_config_static_selectorELNS0_4arch9wavefront6targetE1EEEvT1_,comdat
	.protected	_ZN7rocprim17ROCPRIM_400000_NS6detail17trampoline_kernelINS0_14default_configENS1_25partition_config_selectorILNS1_17partition_subalgoE5EiNS0_10empty_typeEbEEZZNS1_14partition_implILS5_5ELb0ES3_mN6thrust23THRUST_200600_302600_NS17counting_iteratorIiNSA_11use_defaultESC_SC_EEPS6_NSA_18transform_iteratorINSA_8identityIiEENSA_6detail15normal_iteratorINSA_10device_ptrIiEEEESC_SC_EENS0_5tupleIJSM_S6_EEENSO_IJSE_SE_EEES6_PlJS6_EEE10hipError_tPvRmT3_T4_T5_T6_T7_T9_mT8_P12ihipStream_tbDpT10_ENKUlT_T0_E_clISt17integral_constantIbLb0EES1A_IbLb1EEEEDaS16_S17_EUlS16_E_NS1_11comp_targetILNS1_3genE9ELNS1_11target_archE1100ELNS1_3gpuE3ELNS1_3repE0EEENS1_30default_config_static_selectorELNS0_4arch9wavefront6targetE1EEEvT1_ ; -- Begin function _ZN7rocprim17ROCPRIM_400000_NS6detail17trampoline_kernelINS0_14default_configENS1_25partition_config_selectorILNS1_17partition_subalgoE5EiNS0_10empty_typeEbEEZZNS1_14partition_implILS5_5ELb0ES3_mN6thrust23THRUST_200600_302600_NS17counting_iteratorIiNSA_11use_defaultESC_SC_EEPS6_NSA_18transform_iteratorINSA_8identityIiEENSA_6detail15normal_iteratorINSA_10device_ptrIiEEEESC_SC_EENS0_5tupleIJSM_S6_EEENSO_IJSE_SE_EEES6_PlJS6_EEE10hipError_tPvRmT3_T4_T5_T6_T7_T9_mT8_P12ihipStream_tbDpT10_ENKUlT_T0_E_clISt17integral_constantIbLb0EES1A_IbLb1EEEEDaS16_S17_EUlS16_E_NS1_11comp_targetILNS1_3genE9ELNS1_11target_archE1100ELNS1_3gpuE3ELNS1_3repE0EEENS1_30default_config_static_selectorELNS0_4arch9wavefront6targetE1EEEvT1_
	.globl	_ZN7rocprim17ROCPRIM_400000_NS6detail17trampoline_kernelINS0_14default_configENS1_25partition_config_selectorILNS1_17partition_subalgoE5EiNS0_10empty_typeEbEEZZNS1_14partition_implILS5_5ELb0ES3_mN6thrust23THRUST_200600_302600_NS17counting_iteratorIiNSA_11use_defaultESC_SC_EEPS6_NSA_18transform_iteratorINSA_8identityIiEENSA_6detail15normal_iteratorINSA_10device_ptrIiEEEESC_SC_EENS0_5tupleIJSM_S6_EEENSO_IJSE_SE_EEES6_PlJS6_EEE10hipError_tPvRmT3_T4_T5_T6_T7_T9_mT8_P12ihipStream_tbDpT10_ENKUlT_T0_E_clISt17integral_constantIbLb0EES1A_IbLb1EEEEDaS16_S17_EUlS16_E_NS1_11comp_targetILNS1_3genE9ELNS1_11target_archE1100ELNS1_3gpuE3ELNS1_3repE0EEENS1_30default_config_static_selectorELNS0_4arch9wavefront6targetE1EEEvT1_
	.p2align	8
	.type	_ZN7rocprim17ROCPRIM_400000_NS6detail17trampoline_kernelINS0_14default_configENS1_25partition_config_selectorILNS1_17partition_subalgoE5EiNS0_10empty_typeEbEEZZNS1_14partition_implILS5_5ELb0ES3_mN6thrust23THRUST_200600_302600_NS17counting_iteratorIiNSA_11use_defaultESC_SC_EEPS6_NSA_18transform_iteratorINSA_8identityIiEENSA_6detail15normal_iteratorINSA_10device_ptrIiEEEESC_SC_EENS0_5tupleIJSM_S6_EEENSO_IJSE_SE_EEES6_PlJS6_EEE10hipError_tPvRmT3_T4_T5_T6_T7_T9_mT8_P12ihipStream_tbDpT10_ENKUlT_T0_E_clISt17integral_constantIbLb0EES1A_IbLb1EEEEDaS16_S17_EUlS16_E_NS1_11comp_targetILNS1_3genE9ELNS1_11target_archE1100ELNS1_3gpuE3ELNS1_3repE0EEENS1_30default_config_static_selectorELNS0_4arch9wavefront6targetE1EEEvT1_,@function
_ZN7rocprim17ROCPRIM_400000_NS6detail17trampoline_kernelINS0_14default_configENS1_25partition_config_selectorILNS1_17partition_subalgoE5EiNS0_10empty_typeEbEEZZNS1_14partition_implILS5_5ELb0ES3_mN6thrust23THRUST_200600_302600_NS17counting_iteratorIiNSA_11use_defaultESC_SC_EEPS6_NSA_18transform_iteratorINSA_8identityIiEENSA_6detail15normal_iteratorINSA_10device_ptrIiEEEESC_SC_EENS0_5tupleIJSM_S6_EEENSO_IJSE_SE_EEES6_PlJS6_EEE10hipError_tPvRmT3_T4_T5_T6_T7_T9_mT8_P12ihipStream_tbDpT10_ENKUlT_T0_E_clISt17integral_constantIbLb0EES1A_IbLb1EEEEDaS16_S17_EUlS16_E_NS1_11comp_targetILNS1_3genE9ELNS1_11target_archE1100ELNS1_3gpuE3ELNS1_3repE0EEENS1_30default_config_static_selectorELNS0_4arch9wavefront6targetE1EEEvT1_: ; @_ZN7rocprim17ROCPRIM_400000_NS6detail17trampoline_kernelINS0_14default_configENS1_25partition_config_selectorILNS1_17partition_subalgoE5EiNS0_10empty_typeEbEEZZNS1_14partition_implILS5_5ELb0ES3_mN6thrust23THRUST_200600_302600_NS17counting_iteratorIiNSA_11use_defaultESC_SC_EEPS6_NSA_18transform_iteratorINSA_8identityIiEENSA_6detail15normal_iteratorINSA_10device_ptrIiEEEESC_SC_EENS0_5tupleIJSM_S6_EEENSO_IJSE_SE_EEES6_PlJS6_EEE10hipError_tPvRmT3_T4_T5_T6_T7_T9_mT8_P12ihipStream_tbDpT10_ENKUlT_T0_E_clISt17integral_constantIbLb0EES1A_IbLb1EEEEDaS16_S17_EUlS16_E_NS1_11comp_targetILNS1_3genE9ELNS1_11target_archE1100ELNS1_3gpuE3ELNS1_3repE0EEENS1_30default_config_static_selectorELNS0_4arch9wavefront6targetE1EEEvT1_
; %bb.0:
	.section	.rodata,"a",@progbits
	.p2align	6, 0x0
	.amdhsa_kernel _ZN7rocprim17ROCPRIM_400000_NS6detail17trampoline_kernelINS0_14default_configENS1_25partition_config_selectorILNS1_17partition_subalgoE5EiNS0_10empty_typeEbEEZZNS1_14partition_implILS5_5ELb0ES3_mN6thrust23THRUST_200600_302600_NS17counting_iteratorIiNSA_11use_defaultESC_SC_EEPS6_NSA_18transform_iteratorINSA_8identityIiEENSA_6detail15normal_iteratorINSA_10device_ptrIiEEEESC_SC_EENS0_5tupleIJSM_S6_EEENSO_IJSE_SE_EEES6_PlJS6_EEE10hipError_tPvRmT3_T4_T5_T6_T7_T9_mT8_P12ihipStream_tbDpT10_ENKUlT_T0_E_clISt17integral_constantIbLb0EES1A_IbLb1EEEEDaS16_S17_EUlS16_E_NS1_11comp_targetILNS1_3genE9ELNS1_11target_archE1100ELNS1_3gpuE3ELNS1_3repE0EEENS1_30default_config_static_selectorELNS0_4arch9wavefront6targetE1EEEvT1_
		.amdhsa_group_segment_fixed_size 0
		.amdhsa_private_segment_fixed_size 0
		.amdhsa_kernarg_size 136
		.amdhsa_user_sgpr_count 6
		.amdhsa_user_sgpr_private_segment_buffer 1
		.amdhsa_user_sgpr_dispatch_ptr 0
		.amdhsa_user_sgpr_queue_ptr 0
		.amdhsa_user_sgpr_kernarg_segment_ptr 1
		.amdhsa_user_sgpr_dispatch_id 0
		.amdhsa_user_sgpr_flat_scratch_init 0
		.amdhsa_user_sgpr_kernarg_preload_length 0
		.amdhsa_user_sgpr_kernarg_preload_offset 0
		.amdhsa_user_sgpr_private_segment_size 0
		.amdhsa_uses_dynamic_stack 0
		.amdhsa_system_sgpr_private_segment_wavefront_offset 0
		.amdhsa_system_sgpr_workgroup_id_x 1
		.amdhsa_system_sgpr_workgroup_id_y 0
		.amdhsa_system_sgpr_workgroup_id_z 0
		.amdhsa_system_sgpr_workgroup_info 0
		.amdhsa_system_vgpr_workitem_id 0
		.amdhsa_next_free_vgpr 1
		.amdhsa_next_free_sgpr 0
		.amdhsa_accum_offset 4
		.amdhsa_reserve_vcc 0
		.amdhsa_reserve_flat_scratch 0
		.amdhsa_float_round_mode_32 0
		.amdhsa_float_round_mode_16_64 0
		.amdhsa_float_denorm_mode_32 3
		.amdhsa_float_denorm_mode_16_64 3
		.amdhsa_dx10_clamp 1
		.amdhsa_ieee_mode 1
		.amdhsa_fp16_overflow 0
		.amdhsa_tg_split 0
		.amdhsa_exception_fp_ieee_invalid_op 0
		.amdhsa_exception_fp_denorm_src 0
		.amdhsa_exception_fp_ieee_div_zero 0
		.amdhsa_exception_fp_ieee_overflow 0
		.amdhsa_exception_fp_ieee_underflow 0
		.amdhsa_exception_fp_ieee_inexact 0
		.amdhsa_exception_int_div_zero 0
	.end_amdhsa_kernel
	.section	.text._ZN7rocprim17ROCPRIM_400000_NS6detail17trampoline_kernelINS0_14default_configENS1_25partition_config_selectorILNS1_17partition_subalgoE5EiNS0_10empty_typeEbEEZZNS1_14partition_implILS5_5ELb0ES3_mN6thrust23THRUST_200600_302600_NS17counting_iteratorIiNSA_11use_defaultESC_SC_EEPS6_NSA_18transform_iteratorINSA_8identityIiEENSA_6detail15normal_iteratorINSA_10device_ptrIiEEEESC_SC_EENS0_5tupleIJSM_S6_EEENSO_IJSE_SE_EEES6_PlJS6_EEE10hipError_tPvRmT3_T4_T5_T6_T7_T9_mT8_P12ihipStream_tbDpT10_ENKUlT_T0_E_clISt17integral_constantIbLb0EES1A_IbLb1EEEEDaS16_S17_EUlS16_E_NS1_11comp_targetILNS1_3genE9ELNS1_11target_archE1100ELNS1_3gpuE3ELNS1_3repE0EEENS1_30default_config_static_selectorELNS0_4arch9wavefront6targetE1EEEvT1_,"axG",@progbits,_ZN7rocprim17ROCPRIM_400000_NS6detail17trampoline_kernelINS0_14default_configENS1_25partition_config_selectorILNS1_17partition_subalgoE5EiNS0_10empty_typeEbEEZZNS1_14partition_implILS5_5ELb0ES3_mN6thrust23THRUST_200600_302600_NS17counting_iteratorIiNSA_11use_defaultESC_SC_EEPS6_NSA_18transform_iteratorINSA_8identityIiEENSA_6detail15normal_iteratorINSA_10device_ptrIiEEEESC_SC_EENS0_5tupleIJSM_S6_EEENSO_IJSE_SE_EEES6_PlJS6_EEE10hipError_tPvRmT3_T4_T5_T6_T7_T9_mT8_P12ihipStream_tbDpT10_ENKUlT_T0_E_clISt17integral_constantIbLb0EES1A_IbLb1EEEEDaS16_S17_EUlS16_E_NS1_11comp_targetILNS1_3genE9ELNS1_11target_archE1100ELNS1_3gpuE3ELNS1_3repE0EEENS1_30default_config_static_selectorELNS0_4arch9wavefront6targetE1EEEvT1_,comdat
.Lfunc_end43:
	.size	_ZN7rocprim17ROCPRIM_400000_NS6detail17trampoline_kernelINS0_14default_configENS1_25partition_config_selectorILNS1_17partition_subalgoE5EiNS0_10empty_typeEbEEZZNS1_14partition_implILS5_5ELb0ES3_mN6thrust23THRUST_200600_302600_NS17counting_iteratorIiNSA_11use_defaultESC_SC_EEPS6_NSA_18transform_iteratorINSA_8identityIiEENSA_6detail15normal_iteratorINSA_10device_ptrIiEEEESC_SC_EENS0_5tupleIJSM_S6_EEENSO_IJSE_SE_EEES6_PlJS6_EEE10hipError_tPvRmT3_T4_T5_T6_T7_T9_mT8_P12ihipStream_tbDpT10_ENKUlT_T0_E_clISt17integral_constantIbLb0EES1A_IbLb1EEEEDaS16_S17_EUlS16_E_NS1_11comp_targetILNS1_3genE9ELNS1_11target_archE1100ELNS1_3gpuE3ELNS1_3repE0EEENS1_30default_config_static_selectorELNS0_4arch9wavefront6targetE1EEEvT1_, .Lfunc_end43-_ZN7rocprim17ROCPRIM_400000_NS6detail17trampoline_kernelINS0_14default_configENS1_25partition_config_selectorILNS1_17partition_subalgoE5EiNS0_10empty_typeEbEEZZNS1_14partition_implILS5_5ELb0ES3_mN6thrust23THRUST_200600_302600_NS17counting_iteratorIiNSA_11use_defaultESC_SC_EEPS6_NSA_18transform_iteratorINSA_8identityIiEENSA_6detail15normal_iteratorINSA_10device_ptrIiEEEESC_SC_EENS0_5tupleIJSM_S6_EEENSO_IJSE_SE_EEES6_PlJS6_EEE10hipError_tPvRmT3_T4_T5_T6_T7_T9_mT8_P12ihipStream_tbDpT10_ENKUlT_T0_E_clISt17integral_constantIbLb0EES1A_IbLb1EEEEDaS16_S17_EUlS16_E_NS1_11comp_targetILNS1_3genE9ELNS1_11target_archE1100ELNS1_3gpuE3ELNS1_3repE0EEENS1_30default_config_static_selectorELNS0_4arch9wavefront6targetE1EEEvT1_
                                        ; -- End function
	.section	.AMDGPU.csdata,"",@progbits
; Kernel info:
; codeLenInByte = 0
; NumSgprs: 4
; NumVgprs: 0
; NumAgprs: 0
; TotalNumVgprs: 0
; ScratchSize: 0
; MemoryBound: 0
; FloatMode: 240
; IeeeMode: 1
; LDSByteSize: 0 bytes/workgroup (compile time only)
; SGPRBlocks: 0
; VGPRBlocks: 0
; NumSGPRsForWavesPerEU: 4
; NumVGPRsForWavesPerEU: 1
; AccumOffset: 4
; Occupancy: 8
; WaveLimiterHint : 0
; COMPUTE_PGM_RSRC2:SCRATCH_EN: 0
; COMPUTE_PGM_RSRC2:USER_SGPR: 6
; COMPUTE_PGM_RSRC2:TRAP_HANDLER: 0
; COMPUTE_PGM_RSRC2:TGID_X_EN: 1
; COMPUTE_PGM_RSRC2:TGID_Y_EN: 0
; COMPUTE_PGM_RSRC2:TGID_Z_EN: 0
; COMPUTE_PGM_RSRC2:TIDIG_COMP_CNT: 0
; COMPUTE_PGM_RSRC3_GFX90A:ACCUM_OFFSET: 0
; COMPUTE_PGM_RSRC3_GFX90A:TG_SPLIT: 0
	.section	.text._ZN7rocprim17ROCPRIM_400000_NS6detail17trampoline_kernelINS0_14default_configENS1_25partition_config_selectorILNS1_17partition_subalgoE5EiNS0_10empty_typeEbEEZZNS1_14partition_implILS5_5ELb0ES3_mN6thrust23THRUST_200600_302600_NS17counting_iteratorIiNSA_11use_defaultESC_SC_EEPS6_NSA_18transform_iteratorINSA_8identityIiEENSA_6detail15normal_iteratorINSA_10device_ptrIiEEEESC_SC_EENS0_5tupleIJSM_S6_EEENSO_IJSE_SE_EEES6_PlJS6_EEE10hipError_tPvRmT3_T4_T5_T6_T7_T9_mT8_P12ihipStream_tbDpT10_ENKUlT_T0_E_clISt17integral_constantIbLb0EES1A_IbLb1EEEEDaS16_S17_EUlS16_E_NS1_11comp_targetILNS1_3genE8ELNS1_11target_archE1030ELNS1_3gpuE2ELNS1_3repE0EEENS1_30default_config_static_selectorELNS0_4arch9wavefront6targetE1EEEvT1_,"axG",@progbits,_ZN7rocprim17ROCPRIM_400000_NS6detail17trampoline_kernelINS0_14default_configENS1_25partition_config_selectorILNS1_17partition_subalgoE5EiNS0_10empty_typeEbEEZZNS1_14partition_implILS5_5ELb0ES3_mN6thrust23THRUST_200600_302600_NS17counting_iteratorIiNSA_11use_defaultESC_SC_EEPS6_NSA_18transform_iteratorINSA_8identityIiEENSA_6detail15normal_iteratorINSA_10device_ptrIiEEEESC_SC_EENS0_5tupleIJSM_S6_EEENSO_IJSE_SE_EEES6_PlJS6_EEE10hipError_tPvRmT3_T4_T5_T6_T7_T9_mT8_P12ihipStream_tbDpT10_ENKUlT_T0_E_clISt17integral_constantIbLb0EES1A_IbLb1EEEEDaS16_S17_EUlS16_E_NS1_11comp_targetILNS1_3genE8ELNS1_11target_archE1030ELNS1_3gpuE2ELNS1_3repE0EEENS1_30default_config_static_selectorELNS0_4arch9wavefront6targetE1EEEvT1_,comdat
	.protected	_ZN7rocprim17ROCPRIM_400000_NS6detail17trampoline_kernelINS0_14default_configENS1_25partition_config_selectorILNS1_17partition_subalgoE5EiNS0_10empty_typeEbEEZZNS1_14partition_implILS5_5ELb0ES3_mN6thrust23THRUST_200600_302600_NS17counting_iteratorIiNSA_11use_defaultESC_SC_EEPS6_NSA_18transform_iteratorINSA_8identityIiEENSA_6detail15normal_iteratorINSA_10device_ptrIiEEEESC_SC_EENS0_5tupleIJSM_S6_EEENSO_IJSE_SE_EEES6_PlJS6_EEE10hipError_tPvRmT3_T4_T5_T6_T7_T9_mT8_P12ihipStream_tbDpT10_ENKUlT_T0_E_clISt17integral_constantIbLb0EES1A_IbLb1EEEEDaS16_S17_EUlS16_E_NS1_11comp_targetILNS1_3genE8ELNS1_11target_archE1030ELNS1_3gpuE2ELNS1_3repE0EEENS1_30default_config_static_selectorELNS0_4arch9wavefront6targetE1EEEvT1_ ; -- Begin function _ZN7rocprim17ROCPRIM_400000_NS6detail17trampoline_kernelINS0_14default_configENS1_25partition_config_selectorILNS1_17partition_subalgoE5EiNS0_10empty_typeEbEEZZNS1_14partition_implILS5_5ELb0ES3_mN6thrust23THRUST_200600_302600_NS17counting_iteratorIiNSA_11use_defaultESC_SC_EEPS6_NSA_18transform_iteratorINSA_8identityIiEENSA_6detail15normal_iteratorINSA_10device_ptrIiEEEESC_SC_EENS0_5tupleIJSM_S6_EEENSO_IJSE_SE_EEES6_PlJS6_EEE10hipError_tPvRmT3_T4_T5_T6_T7_T9_mT8_P12ihipStream_tbDpT10_ENKUlT_T0_E_clISt17integral_constantIbLb0EES1A_IbLb1EEEEDaS16_S17_EUlS16_E_NS1_11comp_targetILNS1_3genE8ELNS1_11target_archE1030ELNS1_3gpuE2ELNS1_3repE0EEENS1_30default_config_static_selectorELNS0_4arch9wavefront6targetE1EEEvT1_
	.globl	_ZN7rocprim17ROCPRIM_400000_NS6detail17trampoline_kernelINS0_14default_configENS1_25partition_config_selectorILNS1_17partition_subalgoE5EiNS0_10empty_typeEbEEZZNS1_14partition_implILS5_5ELb0ES3_mN6thrust23THRUST_200600_302600_NS17counting_iteratorIiNSA_11use_defaultESC_SC_EEPS6_NSA_18transform_iteratorINSA_8identityIiEENSA_6detail15normal_iteratorINSA_10device_ptrIiEEEESC_SC_EENS0_5tupleIJSM_S6_EEENSO_IJSE_SE_EEES6_PlJS6_EEE10hipError_tPvRmT3_T4_T5_T6_T7_T9_mT8_P12ihipStream_tbDpT10_ENKUlT_T0_E_clISt17integral_constantIbLb0EES1A_IbLb1EEEEDaS16_S17_EUlS16_E_NS1_11comp_targetILNS1_3genE8ELNS1_11target_archE1030ELNS1_3gpuE2ELNS1_3repE0EEENS1_30default_config_static_selectorELNS0_4arch9wavefront6targetE1EEEvT1_
	.p2align	8
	.type	_ZN7rocprim17ROCPRIM_400000_NS6detail17trampoline_kernelINS0_14default_configENS1_25partition_config_selectorILNS1_17partition_subalgoE5EiNS0_10empty_typeEbEEZZNS1_14partition_implILS5_5ELb0ES3_mN6thrust23THRUST_200600_302600_NS17counting_iteratorIiNSA_11use_defaultESC_SC_EEPS6_NSA_18transform_iteratorINSA_8identityIiEENSA_6detail15normal_iteratorINSA_10device_ptrIiEEEESC_SC_EENS0_5tupleIJSM_S6_EEENSO_IJSE_SE_EEES6_PlJS6_EEE10hipError_tPvRmT3_T4_T5_T6_T7_T9_mT8_P12ihipStream_tbDpT10_ENKUlT_T0_E_clISt17integral_constantIbLb0EES1A_IbLb1EEEEDaS16_S17_EUlS16_E_NS1_11comp_targetILNS1_3genE8ELNS1_11target_archE1030ELNS1_3gpuE2ELNS1_3repE0EEENS1_30default_config_static_selectorELNS0_4arch9wavefront6targetE1EEEvT1_,@function
_ZN7rocprim17ROCPRIM_400000_NS6detail17trampoline_kernelINS0_14default_configENS1_25partition_config_selectorILNS1_17partition_subalgoE5EiNS0_10empty_typeEbEEZZNS1_14partition_implILS5_5ELb0ES3_mN6thrust23THRUST_200600_302600_NS17counting_iteratorIiNSA_11use_defaultESC_SC_EEPS6_NSA_18transform_iteratorINSA_8identityIiEENSA_6detail15normal_iteratorINSA_10device_ptrIiEEEESC_SC_EENS0_5tupleIJSM_S6_EEENSO_IJSE_SE_EEES6_PlJS6_EEE10hipError_tPvRmT3_T4_T5_T6_T7_T9_mT8_P12ihipStream_tbDpT10_ENKUlT_T0_E_clISt17integral_constantIbLb0EES1A_IbLb1EEEEDaS16_S17_EUlS16_E_NS1_11comp_targetILNS1_3genE8ELNS1_11target_archE1030ELNS1_3gpuE2ELNS1_3repE0EEENS1_30default_config_static_selectorELNS0_4arch9wavefront6targetE1EEEvT1_: ; @_ZN7rocprim17ROCPRIM_400000_NS6detail17trampoline_kernelINS0_14default_configENS1_25partition_config_selectorILNS1_17partition_subalgoE5EiNS0_10empty_typeEbEEZZNS1_14partition_implILS5_5ELb0ES3_mN6thrust23THRUST_200600_302600_NS17counting_iteratorIiNSA_11use_defaultESC_SC_EEPS6_NSA_18transform_iteratorINSA_8identityIiEENSA_6detail15normal_iteratorINSA_10device_ptrIiEEEESC_SC_EENS0_5tupleIJSM_S6_EEENSO_IJSE_SE_EEES6_PlJS6_EEE10hipError_tPvRmT3_T4_T5_T6_T7_T9_mT8_P12ihipStream_tbDpT10_ENKUlT_T0_E_clISt17integral_constantIbLb0EES1A_IbLb1EEEEDaS16_S17_EUlS16_E_NS1_11comp_targetILNS1_3genE8ELNS1_11target_archE1030ELNS1_3gpuE2ELNS1_3repE0EEENS1_30default_config_static_selectorELNS0_4arch9wavefront6targetE1EEEvT1_
; %bb.0:
	.section	.rodata,"a",@progbits
	.p2align	6, 0x0
	.amdhsa_kernel _ZN7rocprim17ROCPRIM_400000_NS6detail17trampoline_kernelINS0_14default_configENS1_25partition_config_selectorILNS1_17partition_subalgoE5EiNS0_10empty_typeEbEEZZNS1_14partition_implILS5_5ELb0ES3_mN6thrust23THRUST_200600_302600_NS17counting_iteratorIiNSA_11use_defaultESC_SC_EEPS6_NSA_18transform_iteratorINSA_8identityIiEENSA_6detail15normal_iteratorINSA_10device_ptrIiEEEESC_SC_EENS0_5tupleIJSM_S6_EEENSO_IJSE_SE_EEES6_PlJS6_EEE10hipError_tPvRmT3_T4_T5_T6_T7_T9_mT8_P12ihipStream_tbDpT10_ENKUlT_T0_E_clISt17integral_constantIbLb0EES1A_IbLb1EEEEDaS16_S17_EUlS16_E_NS1_11comp_targetILNS1_3genE8ELNS1_11target_archE1030ELNS1_3gpuE2ELNS1_3repE0EEENS1_30default_config_static_selectorELNS0_4arch9wavefront6targetE1EEEvT1_
		.amdhsa_group_segment_fixed_size 0
		.amdhsa_private_segment_fixed_size 0
		.amdhsa_kernarg_size 136
		.amdhsa_user_sgpr_count 6
		.amdhsa_user_sgpr_private_segment_buffer 1
		.amdhsa_user_sgpr_dispatch_ptr 0
		.amdhsa_user_sgpr_queue_ptr 0
		.amdhsa_user_sgpr_kernarg_segment_ptr 1
		.amdhsa_user_sgpr_dispatch_id 0
		.amdhsa_user_sgpr_flat_scratch_init 0
		.amdhsa_user_sgpr_kernarg_preload_length 0
		.amdhsa_user_sgpr_kernarg_preload_offset 0
		.amdhsa_user_sgpr_private_segment_size 0
		.amdhsa_uses_dynamic_stack 0
		.amdhsa_system_sgpr_private_segment_wavefront_offset 0
		.amdhsa_system_sgpr_workgroup_id_x 1
		.amdhsa_system_sgpr_workgroup_id_y 0
		.amdhsa_system_sgpr_workgroup_id_z 0
		.amdhsa_system_sgpr_workgroup_info 0
		.amdhsa_system_vgpr_workitem_id 0
		.amdhsa_next_free_vgpr 1
		.amdhsa_next_free_sgpr 0
		.amdhsa_accum_offset 4
		.amdhsa_reserve_vcc 0
		.amdhsa_reserve_flat_scratch 0
		.amdhsa_float_round_mode_32 0
		.amdhsa_float_round_mode_16_64 0
		.amdhsa_float_denorm_mode_32 3
		.amdhsa_float_denorm_mode_16_64 3
		.amdhsa_dx10_clamp 1
		.amdhsa_ieee_mode 1
		.amdhsa_fp16_overflow 0
		.amdhsa_tg_split 0
		.amdhsa_exception_fp_ieee_invalid_op 0
		.amdhsa_exception_fp_denorm_src 0
		.amdhsa_exception_fp_ieee_div_zero 0
		.amdhsa_exception_fp_ieee_overflow 0
		.amdhsa_exception_fp_ieee_underflow 0
		.amdhsa_exception_fp_ieee_inexact 0
		.amdhsa_exception_int_div_zero 0
	.end_amdhsa_kernel
	.section	.text._ZN7rocprim17ROCPRIM_400000_NS6detail17trampoline_kernelINS0_14default_configENS1_25partition_config_selectorILNS1_17partition_subalgoE5EiNS0_10empty_typeEbEEZZNS1_14partition_implILS5_5ELb0ES3_mN6thrust23THRUST_200600_302600_NS17counting_iteratorIiNSA_11use_defaultESC_SC_EEPS6_NSA_18transform_iteratorINSA_8identityIiEENSA_6detail15normal_iteratorINSA_10device_ptrIiEEEESC_SC_EENS0_5tupleIJSM_S6_EEENSO_IJSE_SE_EEES6_PlJS6_EEE10hipError_tPvRmT3_T4_T5_T6_T7_T9_mT8_P12ihipStream_tbDpT10_ENKUlT_T0_E_clISt17integral_constantIbLb0EES1A_IbLb1EEEEDaS16_S17_EUlS16_E_NS1_11comp_targetILNS1_3genE8ELNS1_11target_archE1030ELNS1_3gpuE2ELNS1_3repE0EEENS1_30default_config_static_selectorELNS0_4arch9wavefront6targetE1EEEvT1_,"axG",@progbits,_ZN7rocprim17ROCPRIM_400000_NS6detail17trampoline_kernelINS0_14default_configENS1_25partition_config_selectorILNS1_17partition_subalgoE5EiNS0_10empty_typeEbEEZZNS1_14partition_implILS5_5ELb0ES3_mN6thrust23THRUST_200600_302600_NS17counting_iteratorIiNSA_11use_defaultESC_SC_EEPS6_NSA_18transform_iteratorINSA_8identityIiEENSA_6detail15normal_iteratorINSA_10device_ptrIiEEEESC_SC_EENS0_5tupleIJSM_S6_EEENSO_IJSE_SE_EEES6_PlJS6_EEE10hipError_tPvRmT3_T4_T5_T6_T7_T9_mT8_P12ihipStream_tbDpT10_ENKUlT_T0_E_clISt17integral_constantIbLb0EES1A_IbLb1EEEEDaS16_S17_EUlS16_E_NS1_11comp_targetILNS1_3genE8ELNS1_11target_archE1030ELNS1_3gpuE2ELNS1_3repE0EEENS1_30default_config_static_selectorELNS0_4arch9wavefront6targetE1EEEvT1_,comdat
.Lfunc_end44:
	.size	_ZN7rocprim17ROCPRIM_400000_NS6detail17trampoline_kernelINS0_14default_configENS1_25partition_config_selectorILNS1_17partition_subalgoE5EiNS0_10empty_typeEbEEZZNS1_14partition_implILS5_5ELb0ES3_mN6thrust23THRUST_200600_302600_NS17counting_iteratorIiNSA_11use_defaultESC_SC_EEPS6_NSA_18transform_iteratorINSA_8identityIiEENSA_6detail15normal_iteratorINSA_10device_ptrIiEEEESC_SC_EENS0_5tupleIJSM_S6_EEENSO_IJSE_SE_EEES6_PlJS6_EEE10hipError_tPvRmT3_T4_T5_T6_T7_T9_mT8_P12ihipStream_tbDpT10_ENKUlT_T0_E_clISt17integral_constantIbLb0EES1A_IbLb1EEEEDaS16_S17_EUlS16_E_NS1_11comp_targetILNS1_3genE8ELNS1_11target_archE1030ELNS1_3gpuE2ELNS1_3repE0EEENS1_30default_config_static_selectorELNS0_4arch9wavefront6targetE1EEEvT1_, .Lfunc_end44-_ZN7rocprim17ROCPRIM_400000_NS6detail17trampoline_kernelINS0_14default_configENS1_25partition_config_selectorILNS1_17partition_subalgoE5EiNS0_10empty_typeEbEEZZNS1_14partition_implILS5_5ELb0ES3_mN6thrust23THRUST_200600_302600_NS17counting_iteratorIiNSA_11use_defaultESC_SC_EEPS6_NSA_18transform_iteratorINSA_8identityIiEENSA_6detail15normal_iteratorINSA_10device_ptrIiEEEESC_SC_EENS0_5tupleIJSM_S6_EEENSO_IJSE_SE_EEES6_PlJS6_EEE10hipError_tPvRmT3_T4_T5_T6_T7_T9_mT8_P12ihipStream_tbDpT10_ENKUlT_T0_E_clISt17integral_constantIbLb0EES1A_IbLb1EEEEDaS16_S17_EUlS16_E_NS1_11comp_targetILNS1_3genE8ELNS1_11target_archE1030ELNS1_3gpuE2ELNS1_3repE0EEENS1_30default_config_static_selectorELNS0_4arch9wavefront6targetE1EEEvT1_
                                        ; -- End function
	.section	.AMDGPU.csdata,"",@progbits
; Kernel info:
; codeLenInByte = 0
; NumSgprs: 4
; NumVgprs: 0
; NumAgprs: 0
; TotalNumVgprs: 0
; ScratchSize: 0
; MemoryBound: 0
; FloatMode: 240
; IeeeMode: 1
; LDSByteSize: 0 bytes/workgroup (compile time only)
; SGPRBlocks: 0
; VGPRBlocks: 0
; NumSGPRsForWavesPerEU: 4
; NumVGPRsForWavesPerEU: 1
; AccumOffset: 4
; Occupancy: 8
; WaveLimiterHint : 0
; COMPUTE_PGM_RSRC2:SCRATCH_EN: 0
; COMPUTE_PGM_RSRC2:USER_SGPR: 6
; COMPUTE_PGM_RSRC2:TRAP_HANDLER: 0
; COMPUTE_PGM_RSRC2:TGID_X_EN: 1
; COMPUTE_PGM_RSRC2:TGID_Y_EN: 0
; COMPUTE_PGM_RSRC2:TGID_Z_EN: 0
; COMPUTE_PGM_RSRC2:TIDIG_COMP_CNT: 0
; COMPUTE_PGM_RSRC3_GFX90A:ACCUM_OFFSET: 0
; COMPUTE_PGM_RSRC3_GFX90A:TG_SPLIT: 0
	.section	.text._ZN6thrust23THRUST_200600_302600_NS11hip_rocprim14__parallel_for6kernelILj256ENS1_20__uninitialized_copy7functorINS0_6detail15normal_iteratorINS0_10device_ptrIiEEEENS0_7pointerIiNS1_3tagENS0_11use_defaultESD_EEEEmLj1EEEvT0_T1_SH_,"axG",@progbits,_ZN6thrust23THRUST_200600_302600_NS11hip_rocprim14__parallel_for6kernelILj256ENS1_20__uninitialized_copy7functorINS0_6detail15normal_iteratorINS0_10device_ptrIiEEEENS0_7pointerIiNS1_3tagENS0_11use_defaultESD_EEEEmLj1EEEvT0_T1_SH_,comdat
	.protected	_ZN6thrust23THRUST_200600_302600_NS11hip_rocprim14__parallel_for6kernelILj256ENS1_20__uninitialized_copy7functorINS0_6detail15normal_iteratorINS0_10device_ptrIiEEEENS0_7pointerIiNS1_3tagENS0_11use_defaultESD_EEEEmLj1EEEvT0_T1_SH_ ; -- Begin function _ZN6thrust23THRUST_200600_302600_NS11hip_rocprim14__parallel_for6kernelILj256ENS1_20__uninitialized_copy7functorINS0_6detail15normal_iteratorINS0_10device_ptrIiEEEENS0_7pointerIiNS1_3tagENS0_11use_defaultESD_EEEEmLj1EEEvT0_T1_SH_
	.globl	_ZN6thrust23THRUST_200600_302600_NS11hip_rocprim14__parallel_for6kernelILj256ENS1_20__uninitialized_copy7functorINS0_6detail15normal_iteratorINS0_10device_ptrIiEEEENS0_7pointerIiNS1_3tagENS0_11use_defaultESD_EEEEmLj1EEEvT0_T1_SH_
	.p2align	8
	.type	_ZN6thrust23THRUST_200600_302600_NS11hip_rocprim14__parallel_for6kernelILj256ENS1_20__uninitialized_copy7functorINS0_6detail15normal_iteratorINS0_10device_ptrIiEEEENS0_7pointerIiNS1_3tagENS0_11use_defaultESD_EEEEmLj1EEEvT0_T1_SH_,@function
_ZN6thrust23THRUST_200600_302600_NS11hip_rocprim14__parallel_for6kernelILj256ENS1_20__uninitialized_copy7functorINS0_6detail15normal_iteratorINS0_10device_ptrIiEEEENS0_7pointerIiNS1_3tagENS0_11use_defaultESD_EEEEmLj1EEEvT0_T1_SH_: ; @_ZN6thrust23THRUST_200600_302600_NS11hip_rocprim14__parallel_for6kernelILj256ENS1_20__uninitialized_copy7functorINS0_6detail15normal_iteratorINS0_10device_ptrIiEEEENS0_7pointerIiNS1_3tagENS0_11use_defaultESD_EEEEmLj1EEEvT0_T1_SH_
; %bb.0:
	s_load_dwordx8 s[8:15], s[4:5], 0x0
	s_lshl_b32 s0, s6, 8
	v_mov_b32_e32 v2, 0x100
	v_mov_b32_e32 v3, 0
	s_waitcnt lgkmcnt(0)
	s_add_u32 s6, s0, s14
	s_addc_u32 s7, 0, s15
	s_sub_u32 s0, s12, s6
	s_subb_u32 s1, s13, s7
	v_cmp_lt_u64_e32 vcc, s[0:1], v[2:3]
	s_cbranch_vccz .LBB45_4
; %bb.1:
	v_cmp_gt_u32_e32 vcc, s0, v0
	s_mov_b64 s[2:3], 0
	s_mov_b64 s[0:1], 0
                                        ; implicit-def: $vgpr2_vgpr3
                                        ; implicit-def: $vgpr4_vgpr5
	s_and_saveexec_b64 s[4:5], vcc
	s_xor_b64 s[4:5], exec, s[4:5]
; %bb.2:
	v_mov_b32_e32 v1, s7
	v_add_co_u32_e32 v2, vcc, s6, v0
	v_addc_co_u32_e32 v3, vcc, 0, v1, vcc
	v_lshlrev_b64 v[4:5], 2, v[2:3]
	v_mov_b32_e32 v1, s11
	v_add_co_u32_e32 v2, vcc, s10, v4
	v_addc_co_u32_e32 v3, vcc, v1, v5, vcc
	v_mov_b32_e32 v1, s9
	v_add_co_u32_e32 v4, vcc, s8, v4
	s_mov_b64 s[0:1], exec
	v_addc_co_u32_e32 v5, vcc, v1, v5, vcc
; %bb.3:
	s_or_b64 exec, exec, s[4:5]
	s_and_b64 vcc, exec, s[2:3]
	s_cbranch_vccnz .LBB45_5
	s_branch .LBB45_6
.LBB45_4:
	s_mov_b64 s[0:1], 0
                                        ; implicit-def: $vgpr2_vgpr3
                                        ; implicit-def: $vgpr4_vgpr5
	s_cbranch_execz .LBB45_6
.LBB45_5:
	v_mov_b32_e32 v1, s7
	v_add_co_u32_e32 v0, vcc, s6, v0
	v_addc_co_u32_e32 v1, vcc, 0, v1, vcc
	v_lshlrev_b64 v[0:1], 2, v[0:1]
	v_mov_b32_e32 v2, s9
	v_add_co_u32_e32 v4, vcc, s8, v0
	v_addc_co_u32_e32 v5, vcc, v2, v1, vcc
	v_mov_b32_e32 v3, s11
	v_add_co_u32_e32 v2, vcc, s10, v0
	v_addc_co_u32_e32 v3, vcc, v3, v1, vcc
	s_or_b64 s[0:1], s[0:1], exec
.LBB45_6:
	s_and_saveexec_b64 s[2:3], s[0:1]
	s_cbranch_execnz .LBB45_8
; %bb.7:
	s_endpgm
.LBB45_8:
	flat_load_dword v0, v[4:5]
	s_waitcnt vmcnt(0) lgkmcnt(0)
	flat_store_dword v[2:3], v0
	s_endpgm
	.section	.rodata,"a",@progbits
	.p2align	6, 0x0
	.amdhsa_kernel _ZN6thrust23THRUST_200600_302600_NS11hip_rocprim14__parallel_for6kernelILj256ENS1_20__uninitialized_copy7functorINS0_6detail15normal_iteratorINS0_10device_ptrIiEEEENS0_7pointerIiNS1_3tagENS0_11use_defaultESD_EEEEmLj1EEEvT0_T1_SH_
		.amdhsa_group_segment_fixed_size 0
		.amdhsa_private_segment_fixed_size 0
		.amdhsa_kernarg_size 32
		.amdhsa_user_sgpr_count 6
		.amdhsa_user_sgpr_private_segment_buffer 1
		.amdhsa_user_sgpr_dispatch_ptr 0
		.amdhsa_user_sgpr_queue_ptr 0
		.amdhsa_user_sgpr_kernarg_segment_ptr 1
		.amdhsa_user_sgpr_dispatch_id 0
		.amdhsa_user_sgpr_flat_scratch_init 0
		.amdhsa_user_sgpr_kernarg_preload_length 0
		.amdhsa_user_sgpr_kernarg_preload_offset 0
		.amdhsa_user_sgpr_private_segment_size 0
		.amdhsa_uses_dynamic_stack 0
		.amdhsa_system_sgpr_private_segment_wavefront_offset 0
		.amdhsa_system_sgpr_workgroup_id_x 1
		.amdhsa_system_sgpr_workgroup_id_y 0
		.amdhsa_system_sgpr_workgroup_id_z 0
		.amdhsa_system_sgpr_workgroup_info 0
		.amdhsa_system_vgpr_workitem_id 0
		.amdhsa_next_free_vgpr 6
		.amdhsa_next_free_sgpr 16
		.amdhsa_accum_offset 8
		.amdhsa_reserve_vcc 1
		.amdhsa_reserve_flat_scratch 0
		.amdhsa_float_round_mode_32 0
		.amdhsa_float_round_mode_16_64 0
		.amdhsa_float_denorm_mode_32 3
		.amdhsa_float_denorm_mode_16_64 3
		.amdhsa_dx10_clamp 1
		.amdhsa_ieee_mode 1
		.amdhsa_fp16_overflow 0
		.amdhsa_tg_split 0
		.amdhsa_exception_fp_ieee_invalid_op 0
		.amdhsa_exception_fp_denorm_src 0
		.amdhsa_exception_fp_ieee_div_zero 0
		.amdhsa_exception_fp_ieee_overflow 0
		.amdhsa_exception_fp_ieee_underflow 0
		.amdhsa_exception_fp_ieee_inexact 0
		.amdhsa_exception_int_div_zero 0
	.end_amdhsa_kernel
	.section	.text._ZN6thrust23THRUST_200600_302600_NS11hip_rocprim14__parallel_for6kernelILj256ENS1_20__uninitialized_copy7functorINS0_6detail15normal_iteratorINS0_10device_ptrIiEEEENS0_7pointerIiNS1_3tagENS0_11use_defaultESD_EEEEmLj1EEEvT0_T1_SH_,"axG",@progbits,_ZN6thrust23THRUST_200600_302600_NS11hip_rocprim14__parallel_for6kernelILj256ENS1_20__uninitialized_copy7functorINS0_6detail15normal_iteratorINS0_10device_ptrIiEEEENS0_7pointerIiNS1_3tagENS0_11use_defaultESD_EEEEmLj1EEEvT0_T1_SH_,comdat
.Lfunc_end45:
	.size	_ZN6thrust23THRUST_200600_302600_NS11hip_rocprim14__parallel_for6kernelILj256ENS1_20__uninitialized_copy7functorINS0_6detail15normal_iteratorINS0_10device_ptrIiEEEENS0_7pointerIiNS1_3tagENS0_11use_defaultESD_EEEEmLj1EEEvT0_T1_SH_, .Lfunc_end45-_ZN6thrust23THRUST_200600_302600_NS11hip_rocprim14__parallel_for6kernelILj256ENS1_20__uninitialized_copy7functorINS0_6detail15normal_iteratorINS0_10device_ptrIiEEEENS0_7pointerIiNS1_3tagENS0_11use_defaultESD_EEEEmLj1EEEvT0_T1_SH_
                                        ; -- End function
	.section	.AMDGPU.csdata,"",@progbits
; Kernel info:
; codeLenInByte = 228
; NumSgprs: 20
; NumVgprs: 6
; NumAgprs: 0
; TotalNumVgprs: 6
; ScratchSize: 0
; MemoryBound: 0
; FloatMode: 240
; IeeeMode: 1
; LDSByteSize: 0 bytes/workgroup (compile time only)
; SGPRBlocks: 2
; VGPRBlocks: 0
; NumSGPRsForWavesPerEU: 20
; NumVGPRsForWavesPerEU: 6
; AccumOffset: 8
; Occupancy: 8
; WaveLimiterHint : 0
; COMPUTE_PGM_RSRC2:SCRATCH_EN: 0
; COMPUTE_PGM_RSRC2:USER_SGPR: 6
; COMPUTE_PGM_RSRC2:TRAP_HANDLER: 0
; COMPUTE_PGM_RSRC2:TGID_X_EN: 1
; COMPUTE_PGM_RSRC2:TGID_Y_EN: 0
; COMPUTE_PGM_RSRC2:TGID_Z_EN: 0
; COMPUTE_PGM_RSRC2:TIDIG_COMP_CNT: 0
; COMPUTE_PGM_RSRC3_GFX90A:ACCUM_OFFSET: 1
; COMPUTE_PGM_RSRC3_GFX90A:TG_SPLIT: 0
	.text
	.p2alignl 6, 3212836864
	.fill 256, 4, 3212836864
	.type	__hip_cuid_a72d2ea214fcba69,@object ; @__hip_cuid_a72d2ea214fcba69
	.section	.bss,"aw",@nobits
	.globl	__hip_cuid_a72d2ea214fcba69
__hip_cuid_a72d2ea214fcba69:
	.byte	0                               ; 0x0
	.size	__hip_cuid_a72d2ea214fcba69, 1

	.ident	"AMD clang version 19.0.0git (https://github.com/RadeonOpenCompute/llvm-project roc-6.4.0 25133 c7fe45cf4b819c5991fe208aaa96edf142730f1d)"
	.section	".note.GNU-stack","",@progbits
	.addrsig
	.addrsig_sym __hip_cuid_a72d2ea214fcba69
	.amdgpu_metadata
---
amdhsa.kernels:
  - .agpr_count:     0
    .args:
      - .offset:         0
        .size:           16
        .value_kind:     by_value
      - .offset:         16
        .size:           8
        .value_kind:     by_value
      - .offset:         24
        .size:           8
        .value_kind:     by_value
    .group_segment_fixed_size: 0
    .kernarg_segment_align: 8
    .kernarg_segment_size: 32
    .language:       OpenCL C
    .language_version:
      - 2
      - 0
    .max_flat_workgroup_size: 256
    .name:           _ZN6thrust23THRUST_200600_302600_NS11hip_rocprim14__parallel_for6kernelILj256ENS1_20__uninitialized_fill7functorINS0_10device_ptrIiEEiEEmLj1EEEvT0_T1_SA_
    .private_segment_fixed_size: 0
    .sgpr_count:     16
    .sgpr_spill_count: 0
    .symbol:         _ZN6thrust23THRUST_200600_302600_NS11hip_rocprim14__parallel_for6kernelILj256ENS1_20__uninitialized_fill7functorINS0_10device_ptrIiEEiEEmLj1EEEvT0_T1_SA_.kd
    .uniform_work_group_size: 1
    .uses_dynamic_stack: false
    .vgpr_count:     4
    .vgpr_spill_count: 0
    .wavefront_size: 64
  - .agpr_count:     0
    .args:
      - .address_space:  global
        .offset:         0
        .size:           8
        .value_kind:     global_buffer
      - .offset:         8
        .size:           4
        .value_kind:     by_value
      - .offset:         12
        .size:           1
        .value_kind:     by_value
      - .offset:         16
        .size:           4
        .value_kind:     by_value
      - .address_space:  global
        .offset:         24
        .size:           8
        .value_kind:     global_buffer
      - .offset:         32
        .size:           4
        .value_kind:     hidden_block_count_x
      - .offset:         36
        .size:           4
        .value_kind:     hidden_block_count_y
      - .offset:         40
        .size:           4
        .value_kind:     hidden_block_count_z
      - .offset:         44
        .size:           2
        .value_kind:     hidden_group_size_x
      - .offset:         46
        .size:           2
        .value_kind:     hidden_group_size_y
      - .offset:         48
        .size:           2
        .value_kind:     hidden_group_size_z
      - .offset:         50
        .size:           2
        .value_kind:     hidden_remainder_x
      - .offset:         52
        .size:           2
        .value_kind:     hidden_remainder_y
      - .offset:         54
        .size:           2
        .value_kind:     hidden_remainder_z
      - .offset:         72
        .size:           8
        .value_kind:     hidden_global_offset_x
      - .offset:         80
        .size:           8
        .value_kind:     hidden_global_offset_y
      - .offset:         88
        .size:           8
        .value_kind:     hidden_global_offset_z
      - .offset:         96
        .size:           2
        .value_kind:     hidden_grid_dims
    .group_segment_fixed_size: 0
    .kernarg_segment_align: 8
    .kernarg_segment_size: 288
    .language:       OpenCL C
    .language_version:
      - 2
      - 0
    .max_flat_workgroup_size: 256
    .name:           _ZN7rocprim17ROCPRIM_400000_NS6detail31init_lookback_scan_state_kernelINS1_19lookback_scan_stateImLb0ELb1EEENS1_16block_id_wrapperIjLb0EEEEEvT_jT0_jPNS7_10value_typeE
    .private_segment_fixed_size: 0
    .sgpr_count:     17
    .sgpr_spill_count: 0
    .symbol:         _ZN7rocprim17ROCPRIM_400000_NS6detail31init_lookback_scan_state_kernelINS1_19lookback_scan_stateImLb0ELb1EEENS1_16block_id_wrapperIjLb0EEEEEvT_jT0_jPNS7_10value_typeE.kd
    .uniform_work_group_size: 1
    .uses_dynamic_stack: false
    .vgpr_count:     10
    .vgpr_spill_count: 0
    .wavefront_size: 64
  - .agpr_count:     0
    .args:
      - .offset:         0
        .size:           120
        .value_kind:     by_value
    .group_segment_fixed_size: 0
    .kernarg_segment_align: 8
    .kernarg_segment_size: 120
    .language:       OpenCL C
    .language_version:
      - 2
      - 0
    .max_flat_workgroup_size: 512
    .name:           _ZN7rocprim17ROCPRIM_400000_NS6detail17trampoline_kernelINS0_14default_configENS1_25partition_config_selectorILNS1_17partition_subalgoE5EiNS0_10empty_typeEbEEZZNS1_14partition_implILS5_5ELb0ES3_mN6thrust23THRUST_200600_302600_NS17counting_iteratorIiNSA_11use_defaultESC_SC_EEPS6_NSA_18transform_iteratorINSA_8identityIiEENSA_6detail15normal_iteratorINSA_10device_ptrIiEEEESC_SC_EENS0_5tupleIJSM_S6_EEENSO_IJSE_SE_EEES6_PlJS6_EEE10hipError_tPvRmT3_T4_T5_T6_T7_T9_mT8_P12ihipStream_tbDpT10_ENKUlT_T0_E_clISt17integral_constantIbLb0EES1B_EEDaS16_S17_EUlS16_E_NS1_11comp_targetILNS1_3genE0ELNS1_11target_archE4294967295ELNS1_3gpuE0ELNS1_3repE0EEENS1_30default_config_static_selectorELNS0_4arch9wavefront6targetE1EEEvT1_
    .private_segment_fixed_size: 0
    .sgpr_count:     4
    .sgpr_spill_count: 0
    .symbol:         _ZN7rocprim17ROCPRIM_400000_NS6detail17trampoline_kernelINS0_14default_configENS1_25partition_config_selectorILNS1_17partition_subalgoE5EiNS0_10empty_typeEbEEZZNS1_14partition_implILS5_5ELb0ES3_mN6thrust23THRUST_200600_302600_NS17counting_iteratorIiNSA_11use_defaultESC_SC_EEPS6_NSA_18transform_iteratorINSA_8identityIiEENSA_6detail15normal_iteratorINSA_10device_ptrIiEEEESC_SC_EENS0_5tupleIJSM_S6_EEENSO_IJSE_SE_EEES6_PlJS6_EEE10hipError_tPvRmT3_T4_T5_T6_T7_T9_mT8_P12ihipStream_tbDpT10_ENKUlT_T0_E_clISt17integral_constantIbLb0EES1B_EEDaS16_S17_EUlS16_E_NS1_11comp_targetILNS1_3genE0ELNS1_11target_archE4294967295ELNS1_3gpuE0ELNS1_3repE0EEENS1_30default_config_static_selectorELNS0_4arch9wavefront6targetE1EEEvT1_.kd
    .uniform_work_group_size: 1
    .uses_dynamic_stack: false
    .vgpr_count:     0
    .vgpr_spill_count: 0
    .wavefront_size: 64
  - .agpr_count:     0
    .args:
      - .offset:         0
        .size:           120
        .value_kind:     by_value
    .group_segment_fixed_size: 0
    .kernarg_segment_align: 8
    .kernarg_segment_size: 120
    .language:       OpenCL C
    .language_version:
      - 2
      - 0
    .max_flat_workgroup_size: 512
    .name:           _ZN7rocprim17ROCPRIM_400000_NS6detail17trampoline_kernelINS0_14default_configENS1_25partition_config_selectorILNS1_17partition_subalgoE5EiNS0_10empty_typeEbEEZZNS1_14partition_implILS5_5ELb0ES3_mN6thrust23THRUST_200600_302600_NS17counting_iteratorIiNSA_11use_defaultESC_SC_EEPS6_NSA_18transform_iteratorINSA_8identityIiEENSA_6detail15normal_iteratorINSA_10device_ptrIiEEEESC_SC_EENS0_5tupleIJSM_S6_EEENSO_IJSE_SE_EEES6_PlJS6_EEE10hipError_tPvRmT3_T4_T5_T6_T7_T9_mT8_P12ihipStream_tbDpT10_ENKUlT_T0_E_clISt17integral_constantIbLb0EES1B_EEDaS16_S17_EUlS16_E_NS1_11comp_targetILNS1_3genE5ELNS1_11target_archE942ELNS1_3gpuE9ELNS1_3repE0EEENS1_30default_config_static_selectorELNS0_4arch9wavefront6targetE1EEEvT1_
    .private_segment_fixed_size: 0
    .sgpr_count:     4
    .sgpr_spill_count: 0
    .symbol:         _ZN7rocprim17ROCPRIM_400000_NS6detail17trampoline_kernelINS0_14default_configENS1_25partition_config_selectorILNS1_17partition_subalgoE5EiNS0_10empty_typeEbEEZZNS1_14partition_implILS5_5ELb0ES3_mN6thrust23THRUST_200600_302600_NS17counting_iteratorIiNSA_11use_defaultESC_SC_EEPS6_NSA_18transform_iteratorINSA_8identityIiEENSA_6detail15normal_iteratorINSA_10device_ptrIiEEEESC_SC_EENS0_5tupleIJSM_S6_EEENSO_IJSE_SE_EEES6_PlJS6_EEE10hipError_tPvRmT3_T4_T5_T6_T7_T9_mT8_P12ihipStream_tbDpT10_ENKUlT_T0_E_clISt17integral_constantIbLb0EES1B_EEDaS16_S17_EUlS16_E_NS1_11comp_targetILNS1_3genE5ELNS1_11target_archE942ELNS1_3gpuE9ELNS1_3repE0EEENS1_30default_config_static_selectorELNS0_4arch9wavefront6targetE1EEEvT1_.kd
    .uniform_work_group_size: 1
    .uses_dynamic_stack: false
    .vgpr_count:     0
    .vgpr_spill_count: 0
    .wavefront_size: 64
  - .agpr_count:     0
    .args:
      - .offset:         0
        .size:           120
        .value_kind:     by_value
    .group_segment_fixed_size: 7184
    .kernarg_segment_align: 8
    .kernarg_segment_size: 120
    .language:       OpenCL C
    .language_version:
      - 2
      - 0
    .max_flat_workgroup_size: 256
    .name:           _ZN7rocprim17ROCPRIM_400000_NS6detail17trampoline_kernelINS0_14default_configENS1_25partition_config_selectorILNS1_17partition_subalgoE5EiNS0_10empty_typeEbEEZZNS1_14partition_implILS5_5ELb0ES3_mN6thrust23THRUST_200600_302600_NS17counting_iteratorIiNSA_11use_defaultESC_SC_EEPS6_NSA_18transform_iteratorINSA_8identityIiEENSA_6detail15normal_iteratorINSA_10device_ptrIiEEEESC_SC_EENS0_5tupleIJSM_S6_EEENSO_IJSE_SE_EEES6_PlJS6_EEE10hipError_tPvRmT3_T4_T5_T6_T7_T9_mT8_P12ihipStream_tbDpT10_ENKUlT_T0_E_clISt17integral_constantIbLb0EES1B_EEDaS16_S17_EUlS16_E_NS1_11comp_targetILNS1_3genE4ELNS1_11target_archE910ELNS1_3gpuE8ELNS1_3repE0EEENS1_30default_config_static_selectorELNS0_4arch9wavefront6targetE1EEEvT1_
    .private_segment_fixed_size: 0
    .sgpr_count:     32
    .sgpr_spill_count: 0
    .symbol:         _ZN7rocprim17ROCPRIM_400000_NS6detail17trampoline_kernelINS0_14default_configENS1_25partition_config_selectorILNS1_17partition_subalgoE5EiNS0_10empty_typeEbEEZZNS1_14partition_implILS5_5ELb0ES3_mN6thrust23THRUST_200600_302600_NS17counting_iteratorIiNSA_11use_defaultESC_SC_EEPS6_NSA_18transform_iteratorINSA_8identityIiEENSA_6detail15normal_iteratorINSA_10device_ptrIiEEEESC_SC_EENS0_5tupleIJSM_S6_EEENSO_IJSE_SE_EEES6_PlJS6_EEE10hipError_tPvRmT3_T4_T5_T6_T7_T9_mT8_P12ihipStream_tbDpT10_ENKUlT_T0_E_clISt17integral_constantIbLb0EES1B_EEDaS16_S17_EUlS16_E_NS1_11comp_targetILNS1_3genE4ELNS1_11target_archE910ELNS1_3gpuE8ELNS1_3repE0EEENS1_30default_config_static_selectorELNS0_4arch9wavefront6targetE1EEEvT1_.kd
    .uniform_work_group_size: 1
    .uses_dynamic_stack: false
    .vgpr_count:     56
    .vgpr_spill_count: 0
    .wavefront_size: 64
  - .agpr_count:     0
    .args:
      - .offset:         0
        .size:           120
        .value_kind:     by_value
    .group_segment_fixed_size: 0
    .kernarg_segment_align: 8
    .kernarg_segment_size: 120
    .language:       OpenCL C
    .language_version:
      - 2
      - 0
    .max_flat_workgroup_size: 512
    .name:           _ZN7rocprim17ROCPRIM_400000_NS6detail17trampoline_kernelINS0_14default_configENS1_25partition_config_selectorILNS1_17partition_subalgoE5EiNS0_10empty_typeEbEEZZNS1_14partition_implILS5_5ELb0ES3_mN6thrust23THRUST_200600_302600_NS17counting_iteratorIiNSA_11use_defaultESC_SC_EEPS6_NSA_18transform_iteratorINSA_8identityIiEENSA_6detail15normal_iteratorINSA_10device_ptrIiEEEESC_SC_EENS0_5tupleIJSM_S6_EEENSO_IJSE_SE_EEES6_PlJS6_EEE10hipError_tPvRmT3_T4_T5_T6_T7_T9_mT8_P12ihipStream_tbDpT10_ENKUlT_T0_E_clISt17integral_constantIbLb0EES1B_EEDaS16_S17_EUlS16_E_NS1_11comp_targetILNS1_3genE3ELNS1_11target_archE908ELNS1_3gpuE7ELNS1_3repE0EEENS1_30default_config_static_selectorELNS0_4arch9wavefront6targetE1EEEvT1_
    .private_segment_fixed_size: 0
    .sgpr_count:     4
    .sgpr_spill_count: 0
    .symbol:         _ZN7rocprim17ROCPRIM_400000_NS6detail17trampoline_kernelINS0_14default_configENS1_25partition_config_selectorILNS1_17partition_subalgoE5EiNS0_10empty_typeEbEEZZNS1_14partition_implILS5_5ELb0ES3_mN6thrust23THRUST_200600_302600_NS17counting_iteratorIiNSA_11use_defaultESC_SC_EEPS6_NSA_18transform_iteratorINSA_8identityIiEENSA_6detail15normal_iteratorINSA_10device_ptrIiEEEESC_SC_EENS0_5tupleIJSM_S6_EEENSO_IJSE_SE_EEES6_PlJS6_EEE10hipError_tPvRmT3_T4_T5_T6_T7_T9_mT8_P12ihipStream_tbDpT10_ENKUlT_T0_E_clISt17integral_constantIbLb0EES1B_EEDaS16_S17_EUlS16_E_NS1_11comp_targetILNS1_3genE3ELNS1_11target_archE908ELNS1_3gpuE7ELNS1_3repE0EEENS1_30default_config_static_selectorELNS0_4arch9wavefront6targetE1EEEvT1_.kd
    .uniform_work_group_size: 1
    .uses_dynamic_stack: false
    .vgpr_count:     0
    .vgpr_spill_count: 0
    .wavefront_size: 64
  - .agpr_count:     0
    .args:
      - .offset:         0
        .size:           120
        .value_kind:     by_value
    .group_segment_fixed_size: 0
    .kernarg_segment_align: 8
    .kernarg_segment_size: 120
    .language:       OpenCL C
    .language_version:
      - 2
      - 0
    .max_flat_workgroup_size: 256
    .name:           _ZN7rocprim17ROCPRIM_400000_NS6detail17trampoline_kernelINS0_14default_configENS1_25partition_config_selectorILNS1_17partition_subalgoE5EiNS0_10empty_typeEbEEZZNS1_14partition_implILS5_5ELb0ES3_mN6thrust23THRUST_200600_302600_NS17counting_iteratorIiNSA_11use_defaultESC_SC_EEPS6_NSA_18transform_iteratorINSA_8identityIiEENSA_6detail15normal_iteratorINSA_10device_ptrIiEEEESC_SC_EENS0_5tupleIJSM_S6_EEENSO_IJSE_SE_EEES6_PlJS6_EEE10hipError_tPvRmT3_T4_T5_T6_T7_T9_mT8_P12ihipStream_tbDpT10_ENKUlT_T0_E_clISt17integral_constantIbLb0EES1B_EEDaS16_S17_EUlS16_E_NS1_11comp_targetILNS1_3genE2ELNS1_11target_archE906ELNS1_3gpuE6ELNS1_3repE0EEENS1_30default_config_static_selectorELNS0_4arch9wavefront6targetE1EEEvT1_
    .private_segment_fixed_size: 0
    .sgpr_count:     4
    .sgpr_spill_count: 0
    .symbol:         _ZN7rocprim17ROCPRIM_400000_NS6detail17trampoline_kernelINS0_14default_configENS1_25partition_config_selectorILNS1_17partition_subalgoE5EiNS0_10empty_typeEbEEZZNS1_14partition_implILS5_5ELb0ES3_mN6thrust23THRUST_200600_302600_NS17counting_iteratorIiNSA_11use_defaultESC_SC_EEPS6_NSA_18transform_iteratorINSA_8identityIiEENSA_6detail15normal_iteratorINSA_10device_ptrIiEEEESC_SC_EENS0_5tupleIJSM_S6_EEENSO_IJSE_SE_EEES6_PlJS6_EEE10hipError_tPvRmT3_T4_T5_T6_T7_T9_mT8_P12ihipStream_tbDpT10_ENKUlT_T0_E_clISt17integral_constantIbLb0EES1B_EEDaS16_S17_EUlS16_E_NS1_11comp_targetILNS1_3genE2ELNS1_11target_archE906ELNS1_3gpuE6ELNS1_3repE0EEENS1_30default_config_static_selectorELNS0_4arch9wavefront6targetE1EEEvT1_.kd
    .uniform_work_group_size: 1
    .uses_dynamic_stack: false
    .vgpr_count:     0
    .vgpr_spill_count: 0
    .wavefront_size: 64
  - .agpr_count:     0
    .args:
      - .offset:         0
        .size:           120
        .value_kind:     by_value
    .group_segment_fixed_size: 0
    .kernarg_segment_align: 8
    .kernarg_segment_size: 120
    .language:       OpenCL C
    .language_version:
      - 2
      - 0
    .max_flat_workgroup_size: 192
    .name:           _ZN7rocprim17ROCPRIM_400000_NS6detail17trampoline_kernelINS0_14default_configENS1_25partition_config_selectorILNS1_17partition_subalgoE5EiNS0_10empty_typeEbEEZZNS1_14partition_implILS5_5ELb0ES3_mN6thrust23THRUST_200600_302600_NS17counting_iteratorIiNSA_11use_defaultESC_SC_EEPS6_NSA_18transform_iteratorINSA_8identityIiEENSA_6detail15normal_iteratorINSA_10device_ptrIiEEEESC_SC_EENS0_5tupleIJSM_S6_EEENSO_IJSE_SE_EEES6_PlJS6_EEE10hipError_tPvRmT3_T4_T5_T6_T7_T9_mT8_P12ihipStream_tbDpT10_ENKUlT_T0_E_clISt17integral_constantIbLb0EES1B_EEDaS16_S17_EUlS16_E_NS1_11comp_targetILNS1_3genE10ELNS1_11target_archE1200ELNS1_3gpuE4ELNS1_3repE0EEENS1_30default_config_static_selectorELNS0_4arch9wavefront6targetE1EEEvT1_
    .private_segment_fixed_size: 0
    .sgpr_count:     4
    .sgpr_spill_count: 0
    .symbol:         _ZN7rocprim17ROCPRIM_400000_NS6detail17trampoline_kernelINS0_14default_configENS1_25partition_config_selectorILNS1_17partition_subalgoE5EiNS0_10empty_typeEbEEZZNS1_14partition_implILS5_5ELb0ES3_mN6thrust23THRUST_200600_302600_NS17counting_iteratorIiNSA_11use_defaultESC_SC_EEPS6_NSA_18transform_iteratorINSA_8identityIiEENSA_6detail15normal_iteratorINSA_10device_ptrIiEEEESC_SC_EENS0_5tupleIJSM_S6_EEENSO_IJSE_SE_EEES6_PlJS6_EEE10hipError_tPvRmT3_T4_T5_T6_T7_T9_mT8_P12ihipStream_tbDpT10_ENKUlT_T0_E_clISt17integral_constantIbLb0EES1B_EEDaS16_S17_EUlS16_E_NS1_11comp_targetILNS1_3genE10ELNS1_11target_archE1200ELNS1_3gpuE4ELNS1_3repE0EEENS1_30default_config_static_selectorELNS0_4arch9wavefront6targetE1EEEvT1_.kd
    .uniform_work_group_size: 1
    .uses_dynamic_stack: false
    .vgpr_count:     0
    .vgpr_spill_count: 0
    .wavefront_size: 64
  - .agpr_count:     0
    .args:
      - .offset:         0
        .size:           120
        .value_kind:     by_value
    .group_segment_fixed_size: 0
    .kernarg_segment_align: 8
    .kernarg_segment_size: 120
    .language:       OpenCL C
    .language_version:
      - 2
      - 0
    .max_flat_workgroup_size: 128
    .name:           _ZN7rocprim17ROCPRIM_400000_NS6detail17trampoline_kernelINS0_14default_configENS1_25partition_config_selectorILNS1_17partition_subalgoE5EiNS0_10empty_typeEbEEZZNS1_14partition_implILS5_5ELb0ES3_mN6thrust23THRUST_200600_302600_NS17counting_iteratorIiNSA_11use_defaultESC_SC_EEPS6_NSA_18transform_iteratorINSA_8identityIiEENSA_6detail15normal_iteratorINSA_10device_ptrIiEEEESC_SC_EENS0_5tupleIJSM_S6_EEENSO_IJSE_SE_EEES6_PlJS6_EEE10hipError_tPvRmT3_T4_T5_T6_T7_T9_mT8_P12ihipStream_tbDpT10_ENKUlT_T0_E_clISt17integral_constantIbLb0EES1B_EEDaS16_S17_EUlS16_E_NS1_11comp_targetILNS1_3genE9ELNS1_11target_archE1100ELNS1_3gpuE3ELNS1_3repE0EEENS1_30default_config_static_selectorELNS0_4arch9wavefront6targetE1EEEvT1_
    .private_segment_fixed_size: 0
    .sgpr_count:     4
    .sgpr_spill_count: 0
    .symbol:         _ZN7rocprim17ROCPRIM_400000_NS6detail17trampoline_kernelINS0_14default_configENS1_25partition_config_selectorILNS1_17partition_subalgoE5EiNS0_10empty_typeEbEEZZNS1_14partition_implILS5_5ELb0ES3_mN6thrust23THRUST_200600_302600_NS17counting_iteratorIiNSA_11use_defaultESC_SC_EEPS6_NSA_18transform_iteratorINSA_8identityIiEENSA_6detail15normal_iteratorINSA_10device_ptrIiEEEESC_SC_EENS0_5tupleIJSM_S6_EEENSO_IJSE_SE_EEES6_PlJS6_EEE10hipError_tPvRmT3_T4_T5_T6_T7_T9_mT8_P12ihipStream_tbDpT10_ENKUlT_T0_E_clISt17integral_constantIbLb0EES1B_EEDaS16_S17_EUlS16_E_NS1_11comp_targetILNS1_3genE9ELNS1_11target_archE1100ELNS1_3gpuE3ELNS1_3repE0EEENS1_30default_config_static_selectorELNS0_4arch9wavefront6targetE1EEEvT1_.kd
    .uniform_work_group_size: 1
    .uses_dynamic_stack: false
    .vgpr_count:     0
    .vgpr_spill_count: 0
    .wavefront_size: 64
  - .agpr_count:     0
    .args:
      - .offset:         0
        .size:           120
        .value_kind:     by_value
    .group_segment_fixed_size: 0
    .kernarg_segment_align: 8
    .kernarg_segment_size: 120
    .language:       OpenCL C
    .language_version:
      - 2
      - 0
    .max_flat_workgroup_size: 512
    .name:           _ZN7rocprim17ROCPRIM_400000_NS6detail17trampoline_kernelINS0_14default_configENS1_25partition_config_selectorILNS1_17partition_subalgoE5EiNS0_10empty_typeEbEEZZNS1_14partition_implILS5_5ELb0ES3_mN6thrust23THRUST_200600_302600_NS17counting_iteratorIiNSA_11use_defaultESC_SC_EEPS6_NSA_18transform_iteratorINSA_8identityIiEENSA_6detail15normal_iteratorINSA_10device_ptrIiEEEESC_SC_EENS0_5tupleIJSM_S6_EEENSO_IJSE_SE_EEES6_PlJS6_EEE10hipError_tPvRmT3_T4_T5_T6_T7_T9_mT8_P12ihipStream_tbDpT10_ENKUlT_T0_E_clISt17integral_constantIbLb0EES1B_EEDaS16_S17_EUlS16_E_NS1_11comp_targetILNS1_3genE8ELNS1_11target_archE1030ELNS1_3gpuE2ELNS1_3repE0EEENS1_30default_config_static_selectorELNS0_4arch9wavefront6targetE1EEEvT1_
    .private_segment_fixed_size: 0
    .sgpr_count:     4
    .sgpr_spill_count: 0
    .symbol:         _ZN7rocprim17ROCPRIM_400000_NS6detail17trampoline_kernelINS0_14default_configENS1_25partition_config_selectorILNS1_17partition_subalgoE5EiNS0_10empty_typeEbEEZZNS1_14partition_implILS5_5ELb0ES3_mN6thrust23THRUST_200600_302600_NS17counting_iteratorIiNSA_11use_defaultESC_SC_EEPS6_NSA_18transform_iteratorINSA_8identityIiEENSA_6detail15normal_iteratorINSA_10device_ptrIiEEEESC_SC_EENS0_5tupleIJSM_S6_EEENSO_IJSE_SE_EEES6_PlJS6_EEE10hipError_tPvRmT3_T4_T5_T6_T7_T9_mT8_P12ihipStream_tbDpT10_ENKUlT_T0_E_clISt17integral_constantIbLb0EES1B_EEDaS16_S17_EUlS16_E_NS1_11comp_targetILNS1_3genE8ELNS1_11target_archE1030ELNS1_3gpuE2ELNS1_3repE0EEENS1_30default_config_static_selectorELNS0_4arch9wavefront6targetE1EEEvT1_.kd
    .uniform_work_group_size: 1
    .uses_dynamic_stack: false
    .vgpr_count:     0
    .vgpr_spill_count: 0
    .wavefront_size: 64
  - .agpr_count:     0
    .args:
      - .offset:         0
        .size:           40
        .value_kind:     by_value
    .group_segment_fixed_size: 0
    .kernarg_segment_align: 8
    .kernarg_segment_size: 40
    .language:       OpenCL C
    .language_version:
      - 2
      - 0
    .max_flat_workgroup_size: 128
    .name:           _ZN7rocprim17ROCPRIM_400000_NS6detail17trampoline_kernelINS0_14default_configENS1_25transform_config_selectorImLb1EEEZNS1_14transform_implILb1ES3_S5_PmPlNS0_8identityIvEEEE10hipError_tT2_T3_mT4_P12ihipStream_tbEUlT_E_NS1_11comp_targetILNS1_3genE0ELNS1_11target_archE4294967295ELNS1_3gpuE0ELNS1_3repE0EEENS1_30default_config_static_selectorELNS0_4arch9wavefront6targetE1EEEvT1_
    .private_segment_fixed_size: 0
    .sgpr_count:     4
    .sgpr_spill_count: 0
    .symbol:         _ZN7rocprim17ROCPRIM_400000_NS6detail17trampoline_kernelINS0_14default_configENS1_25transform_config_selectorImLb1EEEZNS1_14transform_implILb1ES3_S5_PmPlNS0_8identityIvEEEE10hipError_tT2_T3_mT4_P12ihipStream_tbEUlT_E_NS1_11comp_targetILNS1_3genE0ELNS1_11target_archE4294967295ELNS1_3gpuE0ELNS1_3repE0EEENS1_30default_config_static_selectorELNS0_4arch9wavefront6targetE1EEEvT1_.kd
    .uniform_work_group_size: 1
    .uses_dynamic_stack: false
    .vgpr_count:     0
    .vgpr_spill_count: 0
    .wavefront_size: 64
  - .agpr_count:     0
    .args:
      - .offset:         0
        .size:           40
        .value_kind:     by_value
    .group_segment_fixed_size: 0
    .kernarg_segment_align: 8
    .kernarg_segment_size: 40
    .language:       OpenCL C
    .language_version:
      - 2
      - 0
    .max_flat_workgroup_size: 1024
    .name:           _ZN7rocprim17ROCPRIM_400000_NS6detail17trampoline_kernelINS0_14default_configENS1_25transform_config_selectorImLb1EEEZNS1_14transform_implILb1ES3_S5_PmPlNS0_8identityIvEEEE10hipError_tT2_T3_mT4_P12ihipStream_tbEUlT_E_NS1_11comp_targetILNS1_3genE10ELNS1_11target_archE1201ELNS1_3gpuE5ELNS1_3repE0EEENS1_30default_config_static_selectorELNS0_4arch9wavefront6targetE1EEEvT1_
    .private_segment_fixed_size: 0
    .sgpr_count:     4
    .sgpr_spill_count: 0
    .symbol:         _ZN7rocprim17ROCPRIM_400000_NS6detail17trampoline_kernelINS0_14default_configENS1_25transform_config_selectorImLb1EEEZNS1_14transform_implILb1ES3_S5_PmPlNS0_8identityIvEEEE10hipError_tT2_T3_mT4_P12ihipStream_tbEUlT_E_NS1_11comp_targetILNS1_3genE10ELNS1_11target_archE1201ELNS1_3gpuE5ELNS1_3repE0EEENS1_30default_config_static_selectorELNS0_4arch9wavefront6targetE1EEEvT1_.kd
    .uniform_work_group_size: 1
    .uses_dynamic_stack: false
    .vgpr_count:     0
    .vgpr_spill_count: 0
    .wavefront_size: 64
  - .agpr_count:     0
    .args:
      - .offset:         0
        .size:           40
        .value_kind:     by_value
    .group_segment_fixed_size: 0
    .kernarg_segment_align: 8
    .kernarg_segment_size: 40
    .language:       OpenCL C
    .language_version:
      - 2
      - 0
    .max_flat_workgroup_size: 512
    .name:           _ZN7rocprim17ROCPRIM_400000_NS6detail17trampoline_kernelINS0_14default_configENS1_25transform_config_selectorImLb1EEEZNS1_14transform_implILb1ES3_S5_PmPlNS0_8identityIvEEEE10hipError_tT2_T3_mT4_P12ihipStream_tbEUlT_E_NS1_11comp_targetILNS1_3genE5ELNS1_11target_archE942ELNS1_3gpuE9ELNS1_3repE0EEENS1_30default_config_static_selectorELNS0_4arch9wavefront6targetE1EEEvT1_
    .private_segment_fixed_size: 0
    .sgpr_count:     4
    .sgpr_spill_count: 0
    .symbol:         _ZN7rocprim17ROCPRIM_400000_NS6detail17trampoline_kernelINS0_14default_configENS1_25transform_config_selectorImLb1EEEZNS1_14transform_implILb1ES3_S5_PmPlNS0_8identityIvEEEE10hipError_tT2_T3_mT4_P12ihipStream_tbEUlT_E_NS1_11comp_targetILNS1_3genE5ELNS1_11target_archE942ELNS1_3gpuE9ELNS1_3repE0EEENS1_30default_config_static_selectorELNS0_4arch9wavefront6targetE1EEEvT1_.kd
    .uniform_work_group_size: 1
    .uses_dynamic_stack: false
    .vgpr_count:     0
    .vgpr_spill_count: 0
    .wavefront_size: 64
  - .agpr_count:     0
    .args:
      - .offset:         0
        .size:           40
        .value_kind:     by_value
      - .offset:         40
        .size:           4
        .value_kind:     hidden_block_count_x
      - .offset:         44
        .size:           4
        .value_kind:     hidden_block_count_y
      - .offset:         48
        .size:           4
        .value_kind:     hidden_block_count_z
      - .offset:         52
        .size:           2
        .value_kind:     hidden_group_size_x
      - .offset:         54
        .size:           2
        .value_kind:     hidden_group_size_y
      - .offset:         56
        .size:           2
        .value_kind:     hidden_group_size_z
      - .offset:         58
        .size:           2
        .value_kind:     hidden_remainder_x
      - .offset:         60
        .size:           2
        .value_kind:     hidden_remainder_y
      - .offset:         62
        .size:           2
        .value_kind:     hidden_remainder_z
      - .offset:         80
        .size:           8
        .value_kind:     hidden_global_offset_x
      - .offset:         88
        .size:           8
        .value_kind:     hidden_global_offset_y
      - .offset:         96
        .size:           8
        .value_kind:     hidden_global_offset_z
      - .offset:         104
        .size:           2
        .value_kind:     hidden_grid_dims
    .group_segment_fixed_size: 0
    .kernarg_segment_align: 8
    .kernarg_segment_size: 296
    .language:       OpenCL C
    .language_version:
      - 2
      - 0
    .max_flat_workgroup_size: 1024
    .name:           _ZN7rocprim17ROCPRIM_400000_NS6detail17trampoline_kernelINS0_14default_configENS1_25transform_config_selectorImLb1EEEZNS1_14transform_implILb1ES3_S5_PmPlNS0_8identityIvEEEE10hipError_tT2_T3_mT4_P12ihipStream_tbEUlT_E_NS1_11comp_targetILNS1_3genE4ELNS1_11target_archE910ELNS1_3gpuE8ELNS1_3repE0EEENS1_30default_config_static_selectorELNS0_4arch9wavefront6targetE1EEEvT1_
    .private_segment_fixed_size: 0
    .sgpr_count:     20
    .sgpr_spill_count: 0
    .symbol:         _ZN7rocprim17ROCPRIM_400000_NS6detail17trampoline_kernelINS0_14default_configENS1_25transform_config_selectorImLb1EEEZNS1_14transform_implILb1ES3_S5_PmPlNS0_8identityIvEEEE10hipError_tT2_T3_mT4_P12ihipStream_tbEUlT_E_NS1_11comp_targetILNS1_3genE4ELNS1_11target_archE910ELNS1_3gpuE8ELNS1_3repE0EEENS1_30default_config_static_selectorELNS0_4arch9wavefront6targetE1EEEvT1_.kd
    .uniform_work_group_size: 1
    .uses_dynamic_stack: false
    .vgpr_count:     7
    .vgpr_spill_count: 0
    .wavefront_size: 64
  - .agpr_count:     0
    .args:
      - .offset:         0
        .size:           40
        .value_kind:     by_value
    .group_segment_fixed_size: 0
    .kernarg_segment_align: 8
    .kernarg_segment_size: 40
    .language:       OpenCL C
    .language_version:
      - 2
      - 0
    .max_flat_workgroup_size: 128
    .name:           _ZN7rocprim17ROCPRIM_400000_NS6detail17trampoline_kernelINS0_14default_configENS1_25transform_config_selectorImLb1EEEZNS1_14transform_implILb1ES3_S5_PmPlNS0_8identityIvEEEE10hipError_tT2_T3_mT4_P12ihipStream_tbEUlT_E_NS1_11comp_targetILNS1_3genE3ELNS1_11target_archE908ELNS1_3gpuE7ELNS1_3repE0EEENS1_30default_config_static_selectorELNS0_4arch9wavefront6targetE1EEEvT1_
    .private_segment_fixed_size: 0
    .sgpr_count:     4
    .sgpr_spill_count: 0
    .symbol:         _ZN7rocprim17ROCPRIM_400000_NS6detail17trampoline_kernelINS0_14default_configENS1_25transform_config_selectorImLb1EEEZNS1_14transform_implILb1ES3_S5_PmPlNS0_8identityIvEEEE10hipError_tT2_T3_mT4_P12ihipStream_tbEUlT_E_NS1_11comp_targetILNS1_3genE3ELNS1_11target_archE908ELNS1_3gpuE7ELNS1_3repE0EEENS1_30default_config_static_selectorELNS0_4arch9wavefront6targetE1EEEvT1_.kd
    .uniform_work_group_size: 1
    .uses_dynamic_stack: false
    .vgpr_count:     0
    .vgpr_spill_count: 0
    .wavefront_size: 64
  - .agpr_count:     0
    .args:
      - .offset:         0
        .size:           40
        .value_kind:     by_value
    .group_segment_fixed_size: 0
    .kernarg_segment_align: 8
    .kernarg_segment_size: 40
    .language:       OpenCL C
    .language_version:
      - 2
      - 0
    .max_flat_workgroup_size: 512
    .name:           _ZN7rocprim17ROCPRIM_400000_NS6detail17trampoline_kernelINS0_14default_configENS1_25transform_config_selectorImLb1EEEZNS1_14transform_implILb1ES3_S5_PmPlNS0_8identityIvEEEE10hipError_tT2_T3_mT4_P12ihipStream_tbEUlT_E_NS1_11comp_targetILNS1_3genE2ELNS1_11target_archE906ELNS1_3gpuE6ELNS1_3repE0EEENS1_30default_config_static_selectorELNS0_4arch9wavefront6targetE1EEEvT1_
    .private_segment_fixed_size: 0
    .sgpr_count:     4
    .sgpr_spill_count: 0
    .symbol:         _ZN7rocprim17ROCPRIM_400000_NS6detail17trampoline_kernelINS0_14default_configENS1_25transform_config_selectorImLb1EEEZNS1_14transform_implILb1ES3_S5_PmPlNS0_8identityIvEEEE10hipError_tT2_T3_mT4_P12ihipStream_tbEUlT_E_NS1_11comp_targetILNS1_3genE2ELNS1_11target_archE906ELNS1_3gpuE6ELNS1_3repE0EEENS1_30default_config_static_selectorELNS0_4arch9wavefront6targetE1EEEvT1_.kd
    .uniform_work_group_size: 1
    .uses_dynamic_stack: false
    .vgpr_count:     0
    .vgpr_spill_count: 0
    .wavefront_size: 64
  - .agpr_count:     0
    .args:
      - .offset:         0
        .size:           40
        .value_kind:     by_value
    .group_segment_fixed_size: 0
    .kernarg_segment_align: 8
    .kernarg_segment_size: 40
    .language:       OpenCL C
    .language_version:
      - 2
      - 0
    .max_flat_workgroup_size: 1024
    .name:           _ZN7rocprim17ROCPRIM_400000_NS6detail17trampoline_kernelINS0_14default_configENS1_25transform_config_selectorImLb1EEEZNS1_14transform_implILb1ES3_S5_PmPlNS0_8identityIvEEEE10hipError_tT2_T3_mT4_P12ihipStream_tbEUlT_E_NS1_11comp_targetILNS1_3genE9ELNS1_11target_archE1100ELNS1_3gpuE3ELNS1_3repE0EEENS1_30default_config_static_selectorELNS0_4arch9wavefront6targetE1EEEvT1_
    .private_segment_fixed_size: 0
    .sgpr_count:     4
    .sgpr_spill_count: 0
    .symbol:         _ZN7rocprim17ROCPRIM_400000_NS6detail17trampoline_kernelINS0_14default_configENS1_25transform_config_selectorImLb1EEEZNS1_14transform_implILb1ES3_S5_PmPlNS0_8identityIvEEEE10hipError_tT2_T3_mT4_P12ihipStream_tbEUlT_E_NS1_11comp_targetILNS1_3genE9ELNS1_11target_archE1100ELNS1_3gpuE3ELNS1_3repE0EEENS1_30default_config_static_selectorELNS0_4arch9wavefront6targetE1EEEvT1_.kd
    .uniform_work_group_size: 1
    .uses_dynamic_stack: false
    .vgpr_count:     0
    .vgpr_spill_count: 0
    .wavefront_size: 64
  - .agpr_count:     0
    .args:
      - .offset:         0
        .size:           40
        .value_kind:     by_value
    .group_segment_fixed_size: 0
    .kernarg_segment_align: 8
    .kernarg_segment_size: 40
    .language:       OpenCL C
    .language_version:
      - 2
      - 0
    .max_flat_workgroup_size: 1024
    .name:           _ZN7rocprim17ROCPRIM_400000_NS6detail17trampoline_kernelINS0_14default_configENS1_25transform_config_selectorImLb1EEEZNS1_14transform_implILb1ES3_S5_PmPlNS0_8identityIvEEEE10hipError_tT2_T3_mT4_P12ihipStream_tbEUlT_E_NS1_11comp_targetILNS1_3genE8ELNS1_11target_archE1030ELNS1_3gpuE2ELNS1_3repE0EEENS1_30default_config_static_selectorELNS0_4arch9wavefront6targetE1EEEvT1_
    .private_segment_fixed_size: 0
    .sgpr_count:     4
    .sgpr_spill_count: 0
    .symbol:         _ZN7rocprim17ROCPRIM_400000_NS6detail17trampoline_kernelINS0_14default_configENS1_25transform_config_selectorImLb1EEEZNS1_14transform_implILb1ES3_S5_PmPlNS0_8identityIvEEEE10hipError_tT2_T3_mT4_P12ihipStream_tbEUlT_E_NS1_11comp_targetILNS1_3genE8ELNS1_11target_archE1030ELNS1_3gpuE2ELNS1_3repE0EEENS1_30default_config_static_selectorELNS0_4arch9wavefront6targetE1EEEvT1_.kd
    .uniform_work_group_size: 1
    .uses_dynamic_stack: false
    .vgpr_count:     0
    .vgpr_spill_count: 0
    .wavefront_size: 64
  - .agpr_count:     0
    .args:
      - .address_space:  global
        .offset:         0
        .size:           8
        .value_kind:     global_buffer
      - .offset:         8
        .size:           4
        .value_kind:     by_value
      - .address_space:  global
        .offset:         16
        .size:           8
        .value_kind:     global_buffer
      - .offset:         24
        .size:           4
        .value_kind:     by_value
      - .address_space:  global
        .offset:         32
        .size:           8
        .value_kind:     global_buffer
      - .offset:         40
        .size:           4
        .value_kind:     hidden_block_count_x
      - .offset:         44
        .size:           4
        .value_kind:     hidden_block_count_y
      - .offset:         48
        .size:           4
        .value_kind:     hidden_block_count_z
      - .offset:         52
        .size:           2
        .value_kind:     hidden_group_size_x
      - .offset:         54
        .size:           2
        .value_kind:     hidden_group_size_y
      - .offset:         56
        .size:           2
        .value_kind:     hidden_group_size_z
      - .offset:         58
        .size:           2
        .value_kind:     hidden_remainder_x
      - .offset:         60
        .size:           2
        .value_kind:     hidden_remainder_y
      - .offset:         62
        .size:           2
        .value_kind:     hidden_remainder_z
      - .offset:         80
        .size:           8
        .value_kind:     hidden_global_offset_x
      - .offset:         88
        .size:           8
        .value_kind:     hidden_global_offset_y
      - .offset:         96
        .size:           8
        .value_kind:     hidden_global_offset_z
      - .offset:         104
        .size:           2
        .value_kind:     hidden_grid_dims
    .group_segment_fixed_size: 0
    .kernarg_segment_align: 8
    .kernarg_segment_size: 296
    .language:       OpenCL C
    .language_version:
      - 2
      - 0
    .max_flat_workgroup_size: 256
    .name:           _ZN7rocprim17ROCPRIM_400000_NS6detail31init_lookback_scan_state_kernelINS1_19lookback_scan_stateImLb1ELb1EEENS1_16block_id_wrapperIjLb1EEEEEvT_jT0_jPNS7_10value_typeE
    .private_segment_fixed_size: 0
    .sgpr_count:     20
    .sgpr_spill_count: 0
    .symbol:         _ZN7rocprim17ROCPRIM_400000_NS6detail31init_lookback_scan_state_kernelINS1_19lookback_scan_stateImLb1ELb1EEENS1_16block_id_wrapperIjLb1EEEEEvT_jT0_jPNS7_10value_typeE.kd
    .uniform_work_group_size: 1
    .uses_dynamic_stack: false
    .vgpr_count:     10
    .vgpr_spill_count: 0
    .wavefront_size: 64
  - .agpr_count:     0
    .args:
      - .offset:         0
        .size:           136
        .value_kind:     by_value
    .group_segment_fixed_size: 0
    .kernarg_segment_align: 8
    .kernarg_segment_size: 136
    .language:       OpenCL C
    .language_version:
      - 2
      - 0
    .max_flat_workgroup_size: 512
    .name:           _ZN7rocprim17ROCPRIM_400000_NS6detail17trampoline_kernelINS0_14default_configENS1_25partition_config_selectorILNS1_17partition_subalgoE5EiNS0_10empty_typeEbEEZZNS1_14partition_implILS5_5ELb0ES3_mN6thrust23THRUST_200600_302600_NS17counting_iteratorIiNSA_11use_defaultESC_SC_EEPS6_NSA_18transform_iteratorINSA_8identityIiEENSA_6detail15normal_iteratorINSA_10device_ptrIiEEEESC_SC_EENS0_5tupleIJSM_S6_EEENSO_IJSE_SE_EEES6_PlJS6_EEE10hipError_tPvRmT3_T4_T5_T6_T7_T9_mT8_P12ihipStream_tbDpT10_ENKUlT_T0_E_clISt17integral_constantIbLb1EES1B_EEDaS16_S17_EUlS16_E_NS1_11comp_targetILNS1_3genE0ELNS1_11target_archE4294967295ELNS1_3gpuE0ELNS1_3repE0EEENS1_30default_config_static_selectorELNS0_4arch9wavefront6targetE1EEEvT1_
    .private_segment_fixed_size: 0
    .sgpr_count:     4
    .sgpr_spill_count: 0
    .symbol:         _ZN7rocprim17ROCPRIM_400000_NS6detail17trampoline_kernelINS0_14default_configENS1_25partition_config_selectorILNS1_17partition_subalgoE5EiNS0_10empty_typeEbEEZZNS1_14partition_implILS5_5ELb0ES3_mN6thrust23THRUST_200600_302600_NS17counting_iteratorIiNSA_11use_defaultESC_SC_EEPS6_NSA_18transform_iteratorINSA_8identityIiEENSA_6detail15normal_iteratorINSA_10device_ptrIiEEEESC_SC_EENS0_5tupleIJSM_S6_EEENSO_IJSE_SE_EEES6_PlJS6_EEE10hipError_tPvRmT3_T4_T5_T6_T7_T9_mT8_P12ihipStream_tbDpT10_ENKUlT_T0_E_clISt17integral_constantIbLb1EES1B_EEDaS16_S17_EUlS16_E_NS1_11comp_targetILNS1_3genE0ELNS1_11target_archE4294967295ELNS1_3gpuE0ELNS1_3repE0EEENS1_30default_config_static_selectorELNS0_4arch9wavefront6targetE1EEEvT1_.kd
    .uniform_work_group_size: 1
    .uses_dynamic_stack: false
    .vgpr_count:     0
    .vgpr_spill_count: 0
    .wavefront_size: 64
  - .agpr_count:     0
    .args:
      - .offset:         0
        .size:           136
        .value_kind:     by_value
    .group_segment_fixed_size: 0
    .kernarg_segment_align: 8
    .kernarg_segment_size: 136
    .language:       OpenCL C
    .language_version:
      - 2
      - 0
    .max_flat_workgroup_size: 512
    .name:           _ZN7rocprim17ROCPRIM_400000_NS6detail17trampoline_kernelINS0_14default_configENS1_25partition_config_selectorILNS1_17partition_subalgoE5EiNS0_10empty_typeEbEEZZNS1_14partition_implILS5_5ELb0ES3_mN6thrust23THRUST_200600_302600_NS17counting_iteratorIiNSA_11use_defaultESC_SC_EEPS6_NSA_18transform_iteratorINSA_8identityIiEENSA_6detail15normal_iteratorINSA_10device_ptrIiEEEESC_SC_EENS0_5tupleIJSM_S6_EEENSO_IJSE_SE_EEES6_PlJS6_EEE10hipError_tPvRmT3_T4_T5_T6_T7_T9_mT8_P12ihipStream_tbDpT10_ENKUlT_T0_E_clISt17integral_constantIbLb1EES1B_EEDaS16_S17_EUlS16_E_NS1_11comp_targetILNS1_3genE5ELNS1_11target_archE942ELNS1_3gpuE9ELNS1_3repE0EEENS1_30default_config_static_selectorELNS0_4arch9wavefront6targetE1EEEvT1_
    .private_segment_fixed_size: 0
    .sgpr_count:     4
    .sgpr_spill_count: 0
    .symbol:         _ZN7rocprim17ROCPRIM_400000_NS6detail17trampoline_kernelINS0_14default_configENS1_25partition_config_selectorILNS1_17partition_subalgoE5EiNS0_10empty_typeEbEEZZNS1_14partition_implILS5_5ELb0ES3_mN6thrust23THRUST_200600_302600_NS17counting_iteratorIiNSA_11use_defaultESC_SC_EEPS6_NSA_18transform_iteratorINSA_8identityIiEENSA_6detail15normal_iteratorINSA_10device_ptrIiEEEESC_SC_EENS0_5tupleIJSM_S6_EEENSO_IJSE_SE_EEES6_PlJS6_EEE10hipError_tPvRmT3_T4_T5_T6_T7_T9_mT8_P12ihipStream_tbDpT10_ENKUlT_T0_E_clISt17integral_constantIbLb1EES1B_EEDaS16_S17_EUlS16_E_NS1_11comp_targetILNS1_3genE5ELNS1_11target_archE942ELNS1_3gpuE9ELNS1_3repE0EEENS1_30default_config_static_selectorELNS0_4arch9wavefront6targetE1EEEvT1_.kd
    .uniform_work_group_size: 1
    .uses_dynamic_stack: false
    .vgpr_count:     0
    .vgpr_spill_count: 0
    .wavefront_size: 64
  - .agpr_count:     0
    .args:
      - .offset:         0
        .size:           136
        .value_kind:     by_value
    .group_segment_fixed_size: 7184
    .kernarg_segment_align: 8
    .kernarg_segment_size: 136
    .language:       OpenCL C
    .language_version:
      - 2
      - 0
    .max_flat_workgroup_size: 256
    .name:           _ZN7rocprim17ROCPRIM_400000_NS6detail17trampoline_kernelINS0_14default_configENS1_25partition_config_selectorILNS1_17partition_subalgoE5EiNS0_10empty_typeEbEEZZNS1_14partition_implILS5_5ELb0ES3_mN6thrust23THRUST_200600_302600_NS17counting_iteratorIiNSA_11use_defaultESC_SC_EEPS6_NSA_18transform_iteratorINSA_8identityIiEENSA_6detail15normal_iteratorINSA_10device_ptrIiEEEESC_SC_EENS0_5tupleIJSM_S6_EEENSO_IJSE_SE_EEES6_PlJS6_EEE10hipError_tPvRmT3_T4_T5_T6_T7_T9_mT8_P12ihipStream_tbDpT10_ENKUlT_T0_E_clISt17integral_constantIbLb1EES1B_EEDaS16_S17_EUlS16_E_NS1_11comp_targetILNS1_3genE4ELNS1_11target_archE910ELNS1_3gpuE8ELNS1_3repE0EEENS1_30default_config_static_selectorELNS0_4arch9wavefront6targetE1EEEvT1_
    .private_segment_fixed_size: 0
    .sgpr_count:     32
    .sgpr_spill_count: 0
    .symbol:         _ZN7rocprim17ROCPRIM_400000_NS6detail17trampoline_kernelINS0_14default_configENS1_25partition_config_selectorILNS1_17partition_subalgoE5EiNS0_10empty_typeEbEEZZNS1_14partition_implILS5_5ELb0ES3_mN6thrust23THRUST_200600_302600_NS17counting_iteratorIiNSA_11use_defaultESC_SC_EEPS6_NSA_18transform_iteratorINSA_8identityIiEENSA_6detail15normal_iteratorINSA_10device_ptrIiEEEESC_SC_EENS0_5tupleIJSM_S6_EEENSO_IJSE_SE_EEES6_PlJS6_EEE10hipError_tPvRmT3_T4_T5_T6_T7_T9_mT8_P12ihipStream_tbDpT10_ENKUlT_T0_E_clISt17integral_constantIbLb1EES1B_EEDaS16_S17_EUlS16_E_NS1_11comp_targetILNS1_3genE4ELNS1_11target_archE910ELNS1_3gpuE8ELNS1_3repE0EEENS1_30default_config_static_selectorELNS0_4arch9wavefront6targetE1EEEvT1_.kd
    .uniform_work_group_size: 1
    .uses_dynamic_stack: false
    .vgpr_count:     58
    .vgpr_spill_count: 0
    .wavefront_size: 64
  - .agpr_count:     0
    .args:
      - .offset:         0
        .size:           136
        .value_kind:     by_value
    .group_segment_fixed_size: 0
    .kernarg_segment_align: 8
    .kernarg_segment_size: 136
    .language:       OpenCL C
    .language_version:
      - 2
      - 0
    .max_flat_workgroup_size: 512
    .name:           _ZN7rocprim17ROCPRIM_400000_NS6detail17trampoline_kernelINS0_14default_configENS1_25partition_config_selectorILNS1_17partition_subalgoE5EiNS0_10empty_typeEbEEZZNS1_14partition_implILS5_5ELb0ES3_mN6thrust23THRUST_200600_302600_NS17counting_iteratorIiNSA_11use_defaultESC_SC_EEPS6_NSA_18transform_iteratorINSA_8identityIiEENSA_6detail15normal_iteratorINSA_10device_ptrIiEEEESC_SC_EENS0_5tupleIJSM_S6_EEENSO_IJSE_SE_EEES6_PlJS6_EEE10hipError_tPvRmT3_T4_T5_T6_T7_T9_mT8_P12ihipStream_tbDpT10_ENKUlT_T0_E_clISt17integral_constantIbLb1EES1B_EEDaS16_S17_EUlS16_E_NS1_11comp_targetILNS1_3genE3ELNS1_11target_archE908ELNS1_3gpuE7ELNS1_3repE0EEENS1_30default_config_static_selectorELNS0_4arch9wavefront6targetE1EEEvT1_
    .private_segment_fixed_size: 0
    .sgpr_count:     4
    .sgpr_spill_count: 0
    .symbol:         _ZN7rocprim17ROCPRIM_400000_NS6detail17trampoline_kernelINS0_14default_configENS1_25partition_config_selectorILNS1_17partition_subalgoE5EiNS0_10empty_typeEbEEZZNS1_14partition_implILS5_5ELb0ES3_mN6thrust23THRUST_200600_302600_NS17counting_iteratorIiNSA_11use_defaultESC_SC_EEPS6_NSA_18transform_iteratorINSA_8identityIiEENSA_6detail15normal_iteratorINSA_10device_ptrIiEEEESC_SC_EENS0_5tupleIJSM_S6_EEENSO_IJSE_SE_EEES6_PlJS6_EEE10hipError_tPvRmT3_T4_T5_T6_T7_T9_mT8_P12ihipStream_tbDpT10_ENKUlT_T0_E_clISt17integral_constantIbLb1EES1B_EEDaS16_S17_EUlS16_E_NS1_11comp_targetILNS1_3genE3ELNS1_11target_archE908ELNS1_3gpuE7ELNS1_3repE0EEENS1_30default_config_static_selectorELNS0_4arch9wavefront6targetE1EEEvT1_.kd
    .uniform_work_group_size: 1
    .uses_dynamic_stack: false
    .vgpr_count:     0
    .vgpr_spill_count: 0
    .wavefront_size: 64
  - .agpr_count:     0
    .args:
      - .offset:         0
        .size:           136
        .value_kind:     by_value
    .group_segment_fixed_size: 0
    .kernarg_segment_align: 8
    .kernarg_segment_size: 136
    .language:       OpenCL C
    .language_version:
      - 2
      - 0
    .max_flat_workgroup_size: 256
    .name:           _ZN7rocprim17ROCPRIM_400000_NS6detail17trampoline_kernelINS0_14default_configENS1_25partition_config_selectorILNS1_17partition_subalgoE5EiNS0_10empty_typeEbEEZZNS1_14partition_implILS5_5ELb0ES3_mN6thrust23THRUST_200600_302600_NS17counting_iteratorIiNSA_11use_defaultESC_SC_EEPS6_NSA_18transform_iteratorINSA_8identityIiEENSA_6detail15normal_iteratorINSA_10device_ptrIiEEEESC_SC_EENS0_5tupleIJSM_S6_EEENSO_IJSE_SE_EEES6_PlJS6_EEE10hipError_tPvRmT3_T4_T5_T6_T7_T9_mT8_P12ihipStream_tbDpT10_ENKUlT_T0_E_clISt17integral_constantIbLb1EES1B_EEDaS16_S17_EUlS16_E_NS1_11comp_targetILNS1_3genE2ELNS1_11target_archE906ELNS1_3gpuE6ELNS1_3repE0EEENS1_30default_config_static_selectorELNS0_4arch9wavefront6targetE1EEEvT1_
    .private_segment_fixed_size: 0
    .sgpr_count:     4
    .sgpr_spill_count: 0
    .symbol:         _ZN7rocprim17ROCPRIM_400000_NS6detail17trampoline_kernelINS0_14default_configENS1_25partition_config_selectorILNS1_17partition_subalgoE5EiNS0_10empty_typeEbEEZZNS1_14partition_implILS5_5ELb0ES3_mN6thrust23THRUST_200600_302600_NS17counting_iteratorIiNSA_11use_defaultESC_SC_EEPS6_NSA_18transform_iteratorINSA_8identityIiEENSA_6detail15normal_iteratorINSA_10device_ptrIiEEEESC_SC_EENS0_5tupleIJSM_S6_EEENSO_IJSE_SE_EEES6_PlJS6_EEE10hipError_tPvRmT3_T4_T5_T6_T7_T9_mT8_P12ihipStream_tbDpT10_ENKUlT_T0_E_clISt17integral_constantIbLb1EES1B_EEDaS16_S17_EUlS16_E_NS1_11comp_targetILNS1_3genE2ELNS1_11target_archE906ELNS1_3gpuE6ELNS1_3repE0EEENS1_30default_config_static_selectorELNS0_4arch9wavefront6targetE1EEEvT1_.kd
    .uniform_work_group_size: 1
    .uses_dynamic_stack: false
    .vgpr_count:     0
    .vgpr_spill_count: 0
    .wavefront_size: 64
  - .agpr_count:     0
    .args:
      - .offset:         0
        .size:           136
        .value_kind:     by_value
    .group_segment_fixed_size: 0
    .kernarg_segment_align: 8
    .kernarg_segment_size: 136
    .language:       OpenCL C
    .language_version:
      - 2
      - 0
    .max_flat_workgroup_size: 192
    .name:           _ZN7rocprim17ROCPRIM_400000_NS6detail17trampoline_kernelINS0_14default_configENS1_25partition_config_selectorILNS1_17partition_subalgoE5EiNS0_10empty_typeEbEEZZNS1_14partition_implILS5_5ELb0ES3_mN6thrust23THRUST_200600_302600_NS17counting_iteratorIiNSA_11use_defaultESC_SC_EEPS6_NSA_18transform_iteratorINSA_8identityIiEENSA_6detail15normal_iteratorINSA_10device_ptrIiEEEESC_SC_EENS0_5tupleIJSM_S6_EEENSO_IJSE_SE_EEES6_PlJS6_EEE10hipError_tPvRmT3_T4_T5_T6_T7_T9_mT8_P12ihipStream_tbDpT10_ENKUlT_T0_E_clISt17integral_constantIbLb1EES1B_EEDaS16_S17_EUlS16_E_NS1_11comp_targetILNS1_3genE10ELNS1_11target_archE1200ELNS1_3gpuE4ELNS1_3repE0EEENS1_30default_config_static_selectorELNS0_4arch9wavefront6targetE1EEEvT1_
    .private_segment_fixed_size: 0
    .sgpr_count:     4
    .sgpr_spill_count: 0
    .symbol:         _ZN7rocprim17ROCPRIM_400000_NS6detail17trampoline_kernelINS0_14default_configENS1_25partition_config_selectorILNS1_17partition_subalgoE5EiNS0_10empty_typeEbEEZZNS1_14partition_implILS5_5ELb0ES3_mN6thrust23THRUST_200600_302600_NS17counting_iteratorIiNSA_11use_defaultESC_SC_EEPS6_NSA_18transform_iteratorINSA_8identityIiEENSA_6detail15normal_iteratorINSA_10device_ptrIiEEEESC_SC_EENS0_5tupleIJSM_S6_EEENSO_IJSE_SE_EEES6_PlJS6_EEE10hipError_tPvRmT3_T4_T5_T6_T7_T9_mT8_P12ihipStream_tbDpT10_ENKUlT_T0_E_clISt17integral_constantIbLb1EES1B_EEDaS16_S17_EUlS16_E_NS1_11comp_targetILNS1_3genE10ELNS1_11target_archE1200ELNS1_3gpuE4ELNS1_3repE0EEENS1_30default_config_static_selectorELNS0_4arch9wavefront6targetE1EEEvT1_.kd
    .uniform_work_group_size: 1
    .uses_dynamic_stack: false
    .vgpr_count:     0
    .vgpr_spill_count: 0
    .wavefront_size: 64
  - .agpr_count:     0
    .args:
      - .offset:         0
        .size:           136
        .value_kind:     by_value
    .group_segment_fixed_size: 0
    .kernarg_segment_align: 8
    .kernarg_segment_size: 136
    .language:       OpenCL C
    .language_version:
      - 2
      - 0
    .max_flat_workgroup_size: 128
    .name:           _ZN7rocprim17ROCPRIM_400000_NS6detail17trampoline_kernelINS0_14default_configENS1_25partition_config_selectorILNS1_17partition_subalgoE5EiNS0_10empty_typeEbEEZZNS1_14partition_implILS5_5ELb0ES3_mN6thrust23THRUST_200600_302600_NS17counting_iteratorIiNSA_11use_defaultESC_SC_EEPS6_NSA_18transform_iteratorINSA_8identityIiEENSA_6detail15normal_iteratorINSA_10device_ptrIiEEEESC_SC_EENS0_5tupleIJSM_S6_EEENSO_IJSE_SE_EEES6_PlJS6_EEE10hipError_tPvRmT3_T4_T5_T6_T7_T9_mT8_P12ihipStream_tbDpT10_ENKUlT_T0_E_clISt17integral_constantIbLb1EES1B_EEDaS16_S17_EUlS16_E_NS1_11comp_targetILNS1_3genE9ELNS1_11target_archE1100ELNS1_3gpuE3ELNS1_3repE0EEENS1_30default_config_static_selectorELNS0_4arch9wavefront6targetE1EEEvT1_
    .private_segment_fixed_size: 0
    .sgpr_count:     4
    .sgpr_spill_count: 0
    .symbol:         _ZN7rocprim17ROCPRIM_400000_NS6detail17trampoline_kernelINS0_14default_configENS1_25partition_config_selectorILNS1_17partition_subalgoE5EiNS0_10empty_typeEbEEZZNS1_14partition_implILS5_5ELb0ES3_mN6thrust23THRUST_200600_302600_NS17counting_iteratorIiNSA_11use_defaultESC_SC_EEPS6_NSA_18transform_iteratorINSA_8identityIiEENSA_6detail15normal_iteratorINSA_10device_ptrIiEEEESC_SC_EENS0_5tupleIJSM_S6_EEENSO_IJSE_SE_EEES6_PlJS6_EEE10hipError_tPvRmT3_T4_T5_T6_T7_T9_mT8_P12ihipStream_tbDpT10_ENKUlT_T0_E_clISt17integral_constantIbLb1EES1B_EEDaS16_S17_EUlS16_E_NS1_11comp_targetILNS1_3genE9ELNS1_11target_archE1100ELNS1_3gpuE3ELNS1_3repE0EEENS1_30default_config_static_selectorELNS0_4arch9wavefront6targetE1EEEvT1_.kd
    .uniform_work_group_size: 1
    .uses_dynamic_stack: false
    .vgpr_count:     0
    .vgpr_spill_count: 0
    .wavefront_size: 64
  - .agpr_count:     0
    .args:
      - .offset:         0
        .size:           136
        .value_kind:     by_value
    .group_segment_fixed_size: 0
    .kernarg_segment_align: 8
    .kernarg_segment_size: 136
    .language:       OpenCL C
    .language_version:
      - 2
      - 0
    .max_flat_workgroup_size: 512
    .name:           _ZN7rocprim17ROCPRIM_400000_NS6detail17trampoline_kernelINS0_14default_configENS1_25partition_config_selectorILNS1_17partition_subalgoE5EiNS0_10empty_typeEbEEZZNS1_14partition_implILS5_5ELb0ES3_mN6thrust23THRUST_200600_302600_NS17counting_iteratorIiNSA_11use_defaultESC_SC_EEPS6_NSA_18transform_iteratorINSA_8identityIiEENSA_6detail15normal_iteratorINSA_10device_ptrIiEEEESC_SC_EENS0_5tupleIJSM_S6_EEENSO_IJSE_SE_EEES6_PlJS6_EEE10hipError_tPvRmT3_T4_T5_T6_T7_T9_mT8_P12ihipStream_tbDpT10_ENKUlT_T0_E_clISt17integral_constantIbLb1EES1B_EEDaS16_S17_EUlS16_E_NS1_11comp_targetILNS1_3genE8ELNS1_11target_archE1030ELNS1_3gpuE2ELNS1_3repE0EEENS1_30default_config_static_selectorELNS0_4arch9wavefront6targetE1EEEvT1_
    .private_segment_fixed_size: 0
    .sgpr_count:     4
    .sgpr_spill_count: 0
    .symbol:         _ZN7rocprim17ROCPRIM_400000_NS6detail17trampoline_kernelINS0_14default_configENS1_25partition_config_selectorILNS1_17partition_subalgoE5EiNS0_10empty_typeEbEEZZNS1_14partition_implILS5_5ELb0ES3_mN6thrust23THRUST_200600_302600_NS17counting_iteratorIiNSA_11use_defaultESC_SC_EEPS6_NSA_18transform_iteratorINSA_8identityIiEENSA_6detail15normal_iteratorINSA_10device_ptrIiEEEESC_SC_EENS0_5tupleIJSM_S6_EEENSO_IJSE_SE_EEES6_PlJS6_EEE10hipError_tPvRmT3_T4_T5_T6_T7_T9_mT8_P12ihipStream_tbDpT10_ENKUlT_T0_E_clISt17integral_constantIbLb1EES1B_EEDaS16_S17_EUlS16_E_NS1_11comp_targetILNS1_3genE8ELNS1_11target_archE1030ELNS1_3gpuE2ELNS1_3repE0EEENS1_30default_config_static_selectorELNS0_4arch9wavefront6targetE1EEEvT1_.kd
    .uniform_work_group_size: 1
    .uses_dynamic_stack: false
    .vgpr_count:     0
    .vgpr_spill_count: 0
    .wavefront_size: 64
  - .agpr_count:     0
    .args:
      - .address_space:  global
        .offset:         0
        .size:           8
        .value_kind:     global_buffer
      - .offset:         8
        .size:           4
        .value_kind:     by_value
      - .offset:         12
        .size:           1
        .value_kind:     by_value
      - .offset:         16
        .size:           4
        .value_kind:     by_value
      - .address_space:  global
        .offset:         24
        .size:           8
        .value_kind:     global_buffer
      - .offset:         32
        .size:           4
        .value_kind:     hidden_block_count_x
      - .offset:         36
        .size:           4
        .value_kind:     hidden_block_count_y
      - .offset:         40
        .size:           4
        .value_kind:     hidden_block_count_z
      - .offset:         44
        .size:           2
        .value_kind:     hidden_group_size_x
      - .offset:         46
        .size:           2
        .value_kind:     hidden_group_size_y
      - .offset:         48
        .size:           2
        .value_kind:     hidden_group_size_z
      - .offset:         50
        .size:           2
        .value_kind:     hidden_remainder_x
      - .offset:         52
        .size:           2
        .value_kind:     hidden_remainder_y
      - .offset:         54
        .size:           2
        .value_kind:     hidden_remainder_z
      - .offset:         72
        .size:           8
        .value_kind:     hidden_global_offset_x
      - .offset:         80
        .size:           8
        .value_kind:     hidden_global_offset_y
      - .offset:         88
        .size:           8
        .value_kind:     hidden_global_offset_z
      - .offset:         96
        .size:           2
        .value_kind:     hidden_grid_dims
    .group_segment_fixed_size: 0
    .kernarg_segment_align: 8
    .kernarg_segment_size: 288
    .language:       OpenCL C
    .language_version:
      - 2
      - 0
    .max_flat_workgroup_size: 256
    .name:           _ZN7rocprim17ROCPRIM_400000_NS6detail31init_lookback_scan_state_kernelINS1_19lookback_scan_stateImLb1ELb1EEENS1_16block_id_wrapperIjLb0EEEEEvT_jT0_jPNS7_10value_typeE
    .private_segment_fixed_size: 0
    .sgpr_count:     18
    .sgpr_spill_count: 0
    .symbol:         _ZN7rocprim17ROCPRIM_400000_NS6detail31init_lookback_scan_state_kernelINS1_19lookback_scan_stateImLb1ELb1EEENS1_16block_id_wrapperIjLb0EEEEEvT_jT0_jPNS7_10value_typeE.kd
    .uniform_work_group_size: 1
    .uses_dynamic_stack: false
    .vgpr_count:     10
    .vgpr_spill_count: 0
    .wavefront_size: 64
  - .agpr_count:     0
    .args:
      - .offset:         0
        .size:           120
        .value_kind:     by_value
    .group_segment_fixed_size: 0
    .kernarg_segment_align: 8
    .kernarg_segment_size: 120
    .language:       OpenCL C
    .language_version:
      - 2
      - 0
    .max_flat_workgroup_size: 512
    .name:           _ZN7rocprim17ROCPRIM_400000_NS6detail17trampoline_kernelINS0_14default_configENS1_25partition_config_selectorILNS1_17partition_subalgoE5EiNS0_10empty_typeEbEEZZNS1_14partition_implILS5_5ELb0ES3_mN6thrust23THRUST_200600_302600_NS17counting_iteratorIiNSA_11use_defaultESC_SC_EEPS6_NSA_18transform_iteratorINSA_8identityIiEENSA_6detail15normal_iteratorINSA_10device_ptrIiEEEESC_SC_EENS0_5tupleIJSM_S6_EEENSO_IJSE_SE_EEES6_PlJS6_EEE10hipError_tPvRmT3_T4_T5_T6_T7_T9_mT8_P12ihipStream_tbDpT10_ENKUlT_T0_E_clISt17integral_constantIbLb1EES1A_IbLb0EEEEDaS16_S17_EUlS16_E_NS1_11comp_targetILNS1_3genE0ELNS1_11target_archE4294967295ELNS1_3gpuE0ELNS1_3repE0EEENS1_30default_config_static_selectorELNS0_4arch9wavefront6targetE1EEEvT1_
    .private_segment_fixed_size: 0
    .sgpr_count:     4
    .sgpr_spill_count: 0
    .symbol:         _ZN7rocprim17ROCPRIM_400000_NS6detail17trampoline_kernelINS0_14default_configENS1_25partition_config_selectorILNS1_17partition_subalgoE5EiNS0_10empty_typeEbEEZZNS1_14partition_implILS5_5ELb0ES3_mN6thrust23THRUST_200600_302600_NS17counting_iteratorIiNSA_11use_defaultESC_SC_EEPS6_NSA_18transform_iteratorINSA_8identityIiEENSA_6detail15normal_iteratorINSA_10device_ptrIiEEEESC_SC_EENS0_5tupleIJSM_S6_EEENSO_IJSE_SE_EEES6_PlJS6_EEE10hipError_tPvRmT3_T4_T5_T6_T7_T9_mT8_P12ihipStream_tbDpT10_ENKUlT_T0_E_clISt17integral_constantIbLb1EES1A_IbLb0EEEEDaS16_S17_EUlS16_E_NS1_11comp_targetILNS1_3genE0ELNS1_11target_archE4294967295ELNS1_3gpuE0ELNS1_3repE0EEENS1_30default_config_static_selectorELNS0_4arch9wavefront6targetE1EEEvT1_.kd
    .uniform_work_group_size: 1
    .uses_dynamic_stack: false
    .vgpr_count:     0
    .vgpr_spill_count: 0
    .wavefront_size: 64
  - .agpr_count:     0
    .args:
      - .offset:         0
        .size:           120
        .value_kind:     by_value
    .group_segment_fixed_size: 0
    .kernarg_segment_align: 8
    .kernarg_segment_size: 120
    .language:       OpenCL C
    .language_version:
      - 2
      - 0
    .max_flat_workgroup_size: 512
    .name:           _ZN7rocprim17ROCPRIM_400000_NS6detail17trampoline_kernelINS0_14default_configENS1_25partition_config_selectorILNS1_17partition_subalgoE5EiNS0_10empty_typeEbEEZZNS1_14partition_implILS5_5ELb0ES3_mN6thrust23THRUST_200600_302600_NS17counting_iteratorIiNSA_11use_defaultESC_SC_EEPS6_NSA_18transform_iteratorINSA_8identityIiEENSA_6detail15normal_iteratorINSA_10device_ptrIiEEEESC_SC_EENS0_5tupleIJSM_S6_EEENSO_IJSE_SE_EEES6_PlJS6_EEE10hipError_tPvRmT3_T4_T5_T6_T7_T9_mT8_P12ihipStream_tbDpT10_ENKUlT_T0_E_clISt17integral_constantIbLb1EES1A_IbLb0EEEEDaS16_S17_EUlS16_E_NS1_11comp_targetILNS1_3genE5ELNS1_11target_archE942ELNS1_3gpuE9ELNS1_3repE0EEENS1_30default_config_static_selectorELNS0_4arch9wavefront6targetE1EEEvT1_
    .private_segment_fixed_size: 0
    .sgpr_count:     4
    .sgpr_spill_count: 0
    .symbol:         _ZN7rocprim17ROCPRIM_400000_NS6detail17trampoline_kernelINS0_14default_configENS1_25partition_config_selectorILNS1_17partition_subalgoE5EiNS0_10empty_typeEbEEZZNS1_14partition_implILS5_5ELb0ES3_mN6thrust23THRUST_200600_302600_NS17counting_iteratorIiNSA_11use_defaultESC_SC_EEPS6_NSA_18transform_iteratorINSA_8identityIiEENSA_6detail15normal_iteratorINSA_10device_ptrIiEEEESC_SC_EENS0_5tupleIJSM_S6_EEENSO_IJSE_SE_EEES6_PlJS6_EEE10hipError_tPvRmT3_T4_T5_T6_T7_T9_mT8_P12ihipStream_tbDpT10_ENKUlT_T0_E_clISt17integral_constantIbLb1EES1A_IbLb0EEEEDaS16_S17_EUlS16_E_NS1_11comp_targetILNS1_3genE5ELNS1_11target_archE942ELNS1_3gpuE9ELNS1_3repE0EEENS1_30default_config_static_selectorELNS0_4arch9wavefront6targetE1EEEvT1_.kd
    .uniform_work_group_size: 1
    .uses_dynamic_stack: false
    .vgpr_count:     0
    .vgpr_spill_count: 0
    .wavefront_size: 64
  - .agpr_count:     0
    .args:
      - .offset:         0
        .size:           120
        .value_kind:     by_value
    .group_segment_fixed_size: 7184
    .kernarg_segment_align: 8
    .kernarg_segment_size: 120
    .language:       OpenCL C
    .language_version:
      - 2
      - 0
    .max_flat_workgroup_size: 256
    .name:           _ZN7rocprim17ROCPRIM_400000_NS6detail17trampoline_kernelINS0_14default_configENS1_25partition_config_selectorILNS1_17partition_subalgoE5EiNS0_10empty_typeEbEEZZNS1_14partition_implILS5_5ELb0ES3_mN6thrust23THRUST_200600_302600_NS17counting_iteratorIiNSA_11use_defaultESC_SC_EEPS6_NSA_18transform_iteratorINSA_8identityIiEENSA_6detail15normal_iteratorINSA_10device_ptrIiEEEESC_SC_EENS0_5tupleIJSM_S6_EEENSO_IJSE_SE_EEES6_PlJS6_EEE10hipError_tPvRmT3_T4_T5_T6_T7_T9_mT8_P12ihipStream_tbDpT10_ENKUlT_T0_E_clISt17integral_constantIbLb1EES1A_IbLb0EEEEDaS16_S17_EUlS16_E_NS1_11comp_targetILNS1_3genE4ELNS1_11target_archE910ELNS1_3gpuE8ELNS1_3repE0EEENS1_30default_config_static_selectorELNS0_4arch9wavefront6targetE1EEEvT1_
    .private_segment_fixed_size: 0
    .sgpr_count:     32
    .sgpr_spill_count: 0
    .symbol:         _ZN7rocprim17ROCPRIM_400000_NS6detail17trampoline_kernelINS0_14default_configENS1_25partition_config_selectorILNS1_17partition_subalgoE5EiNS0_10empty_typeEbEEZZNS1_14partition_implILS5_5ELb0ES3_mN6thrust23THRUST_200600_302600_NS17counting_iteratorIiNSA_11use_defaultESC_SC_EEPS6_NSA_18transform_iteratorINSA_8identityIiEENSA_6detail15normal_iteratorINSA_10device_ptrIiEEEESC_SC_EENS0_5tupleIJSM_S6_EEENSO_IJSE_SE_EEES6_PlJS6_EEE10hipError_tPvRmT3_T4_T5_T6_T7_T9_mT8_P12ihipStream_tbDpT10_ENKUlT_T0_E_clISt17integral_constantIbLb1EES1A_IbLb0EEEEDaS16_S17_EUlS16_E_NS1_11comp_targetILNS1_3genE4ELNS1_11target_archE910ELNS1_3gpuE8ELNS1_3repE0EEENS1_30default_config_static_selectorELNS0_4arch9wavefront6targetE1EEEvT1_.kd
    .uniform_work_group_size: 1
    .uses_dynamic_stack: false
    .vgpr_count:     56
    .vgpr_spill_count: 0
    .wavefront_size: 64
  - .agpr_count:     0
    .args:
      - .offset:         0
        .size:           120
        .value_kind:     by_value
    .group_segment_fixed_size: 0
    .kernarg_segment_align: 8
    .kernarg_segment_size: 120
    .language:       OpenCL C
    .language_version:
      - 2
      - 0
    .max_flat_workgroup_size: 512
    .name:           _ZN7rocprim17ROCPRIM_400000_NS6detail17trampoline_kernelINS0_14default_configENS1_25partition_config_selectorILNS1_17partition_subalgoE5EiNS0_10empty_typeEbEEZZNS1_14partition_implILS5_5ELb0ES3_mN6thrust23THRUST_200600_302600_NS17counting_iteratorIiNSA_11use_defaultESC_SC_EEPS6_NSA_18transform_iteratorINSA_8identityIiEENSA_6detail15normal_iteratorINSA_10device_ptrIiEEEESC_SC_EENS0_5tupleIJSM_S6_EEENSO_IJSE_SE_EEES6_PlJS6_EEE10hipError_tPvRmT3_T4_T5_T6_T7_T9_mT8_P12ihipStream_tbDpT10_ENKUlT_T0_E_clISt17integral_constantIbLb1EES1A_IbLb0EEEEDaS16_S17_EUlS16_E_NS1_11comp_targetILNS1_3genE3ELNS1_11target_archE908ELNS1_3gpuE7ELNS1_3repE0EEENS1_30default_config_static_selectorELNS0_4arch9wavefront6targetE1EEEvT1_
    .private_segment_fixed_size: 0
    .sgpr_count:     4
    .sgpr_spill_count: 0
    .symbol:         _ZN7rocprim17ROCPRIM_400000_NS6detail17trampoline_kernelINS0_14default_configENS1_25partition_config_selectorILNS1_17partition_subalgoE5EiNS0_10empty_typeEbEEZZNS1_14partition_implILS5_5ELb0ES3_mN6thrust23THRUST_200600_302600_NS17counting_iteratorIiNSA_11use_defaultESC_SC_EEPS6_NSA_18transform_iteratorINSA_8identityIiEENSA_6detail15normal_iteratorINSA_10device_ptrIiEEEESC_SC_EENS0_5tupleIJSM_S6_EEENSO_IJSE_SE_EEES6_PlJS6_EEE10hipError_tPvRmT3_T4_T5_T6_T7_T9_mT8_P12ihipStream_tbDpT10_ENKUlT_T0_E_clISt17integral_constantIbLb1EES1A_IbLb0EEEEDaS16_S17_EUlS16_E_NS1_11comp_targetILNS1_3genE3ELNS1_11target_archE908ELNS1_3gpuE7ELNS1_3repE0EEENS1_30default_config_static_selectorELNS0_4arch9wavefront6targetE1EEEvT1_.kd
    .uniform_work_group_size: 1
    .uses_dynamic_stack: false
    .vgpr_count:     0
    .vgpr_spill_count: 0
    .wavefront_size: 64
  - .agpr_count:     0
    .args:
      - .offset:         0
        .size:           120
        .value_kind:     by_value
    .group_segment_fixed_size: 0
    .kernarg_segment_align: 8
    .kernarg_segment_size: 120
    .language:       OpenCL C
    .language_version:
      - 2
      - 0
    .max_flat_workgroup_size: 256
    .name:           _ZN7rocprim17ROCPRIM_400000_NS6detail17trampoline_kernelINS0_14default_configENS1_25partition_config_selectorILNS1_17partition_subalgoE5EiNS0_10empty_typeEbEEZZNS1_14partition_implILS5_5ELb0ES3_mN6thrust23THRUST_200600_302600_NS17counting_iteratorIiNSA_11use_defaultESC_SC_EEPS6_NSA_18transform_iteratorINSA_8identityIiEENSA_6detail15normal_iteratorINSA_10device_ptrIiEEEESC_SC_EENS0_5tupleIJSM_S6_EEENSO_IJSE_SE_EEES6_PlJS6_EEE10hipError_tPvRmT3_T4_T5_T6_T7_T9_mT8_P12ihipStream_tbDpT10_ENKUlT_T0_E_clISt17integral_constantIbLb1EES1A_IbLb0EEEEDaS16_S17_EUlS16_E_NS1_11comp_targetILNS1_3genE2ELNS1_11target_archE906ELNS1_3gpuE6ELNS1_3repE0EEENS1_30default_config_static_selectorELNS0_4arch9wavefront6targetE1EEEvT1_
    .private_segment_fixed_size: 0
    .sgpr_count:     4
    .sgpr_spill_count: 0
    .symbol:         _ZN7rocprim17ROCPRIM_400000_NS6detail17trampoline_kernelINS0_14default_configENS1_25partition_config_selectorILNS1_17partition_subalgoE5EiNS0_10empty_typeEbEEZZNS1_14partition_implILS5_5ELb0ES3_mN6thrust23THRUST_200600_302600_NS17counting_iteratorIiNSA_11use_defaultESC_SC_EEPS6_NSA_18transform_iteratorINSA_8identityIiEENSA_6detail15normal_iteratorINSA_10device_ptrIiEEEESC_SC_EENS0_5tupleIJSM_S6_EEENSO_IJSE_SE_EEES6_PlJS6_EEE10hipError_tPvRmT3_T4_T5_T6_T7_T9_mT8_P12ihipStream_tbDpT10_ENKUlT_T0_E_clISt17integral_constantIbLb1EES1A_IbLb0EEEEDaS16_S17_EUlS16_E_NS1_11comp_targetILNS1_3genE2ELNS1_11target_archE906ELNS1_3gpuE6ELNS1_3repE0EEENS1_30default_config_static_selectorELNS0_4arch9wavefront6targetE1EEEvT1_.kd
    .uniform_work_group_size: 1
    .uses_dynamic_stack: false
    .vgpr_count:     0
    .vgpr_spill_count: 0
    .wavefront_size: 64
  - .agpr_count:     0
    .args:
      - .offset:         0
        .size:           120
        .value_kind:     by_value
    .group_segment_fixed_size: 0
    .kernarg_segment_align: 8
    .kernarg_segment_size: 120
    .language:       OpenCL C
    .language_version:
      - 2
      - 0
    .max_flat_workgroup_size: 192
    .name:           _ZN7rocprim17ROCPRIM_400000_NS6detail17trampoline_kernelINS0_14default_configENS1_25partition_config_selectorILNS1_17partition_subalgoE5EiNS0_10empty_typeEbEEZZNS1_14partition_implILS5_5ELb0ES3_mN6thrust23THRUST_200600_302600_NS17counting_iteratorIiNSA_11use_defaultESC_SC_EEPS6_NSA_18transform_iteratorINSA_8identityIiEENSA_6detail15normal_iteratorINSA_10device_ptrIiEEEESC_SC_EENS0_5tupleIJSM_S6_EEENSO_IJSE_SE_EEES6_PlJS6_EEE10hipError_tPvRmT3_T4_T5_T6_T7_T9_mT8_P12ihipStream_tbDpT10_ENKUlT_T0_E_clISt17integral_constantIbLb1EES1A_IbLb0EEEEDaS16_S17_EUlS16_E_NS1_11comp_targetILNS1_3genE10ELNS1_11target_archE1200ELNS1_3gpuE4ELNS1_3repE0EEENS1_30default_config_static_selectorELNS0_4arch9wavefront6targetE1EEEvT1_
    .private_segment_fixed_size: 0
    .sgpr_count:     4
    .sgpr_spill_count: 0
    .symbol:         _ZN7rocprim17ROCPRIM_400000_NS6detail17trampoline_kernelINS0_14default_configENS1_25partition_config_selectorILNS1_17partition_subalgoE5EiNS0_10empty_typeEbEEZZNS1_14partition_implILS5_5ELb0ES3_mN6thrust23THRUST_200600_302600_NS17counting_iteratorIiNSA_11use_defaultESC_SC_EEPS6_NSA_18transform_iteratorINSA_8identityIiEENSA_6detail15normal_iteratorINSA_10device_ptrIiEEEESC_SC_EENS0_5tupleIJSM_S6_EEENSO_IJSE_SE_EEES6_PlJS6_EEE10hipError_tPvRmT3_T4_T5_T6_T7_T9_mT8_P12ihipStream_tbDpT10_ENKUlT_T0_E_clISt17integral_constantIbLb1EES1A_IbLb0EEEEDaS16_S17_EUlS16_E_NS1_11comp_targetILNS1_3genE10ELNS1_11target_archE1200ELNS1_3gpuE4ELNS1_3repE0EEENS1_30default_config_static_selectorELNS0_4arch9wavefront6targetE1EEEvT1_.kd
    .uniform_work_group_size: 1
    .uses_dynamic_stack: false
    .vgpr_count:     0
    .vgpr_spill_count: 0
    .wavefront_size: 64
  - .agpr_count:     0
    .args:
      - .offset:         0
        .size:           120
        .value_kind:     by_value
    .group_segment_fixed_size: 0
    .kernarg_segment_align: 8
    .kernarg_segment_size: 120
    .language:       OpenCL C
    .language_version:
      - 2
      - 0
    .max_flat_workgroup_size: 128
    .name:           _ZN7rocprim17ROCPRIM_400000_NS6detail17trampoline_kernelINS0_14default_configENS1_25partition_config_selectorILNS1_17partition_subalgoE5EiNS0_10empty_typeEbEEZZNS1_14partition_implILS5_5ELb0ES3_mN6thrust23THRUST_200600_302600_NS17counting_iteratorIiNSA_11use_defaultESC_SC_EEPS6_NSA_18transform_iteratorINSA_8identityIiEENSA_6detail15normal_iteratorINSA_10device_ptrIiEEEESC_SC_EENS0_5tupleIJSM_S6_EEENSO_IJSE_SE_EEES6_PlJS6_EEE10hipError_tPvRmT3_T4_T5_T6_T7_T9_mT8_P12ihipStream_tbDpT10_ENKUlT_T0_E_clISt17integral_constantIbLb1EES1A_IbLb0EEEEDaS16_S17_EUlS16_E_NS1_11comp_targetILNS1_3genE9ELNS1_11target_archE1100ELNS1_3gpuE3ELNS1_3repE0EEENS1_30default_config_static_selectorELNS0_4arch9wavefront6targetE1EEEvT1_
    .private_segment_fixed_size: 0
    .sgpr_count:     4
    .sgpr_spill_count: 0
    .symbol:         _ZN7rocprim17ROCPRIM_400000_NS6detail17trampoline_kernelINS0_14default_configENS1_25partition_config_selectorILNS1_17partition_subalgoE5EiNS0_10empty_typeEbEEZZNS1_14partition_implILS5_5ELb0ES3_mN6thrust23THRUST_200600_302600_NS17counting_iteratorIiNSA_11use_defaultESC_SC_EEPS6_NSA_18transform_iteratorINSA_8identityIiEENSA_6detail15normal_iteratorINSA_10device_ptrIiEEEESC_SC_EENS0_5tupleIJSM_S6_EEENSO_IJSE_SE_EEES6_PlJS6_EEE10hipError_tPvRmT3_T4_T5_T6_T7_T9_mT8_P12ihipStream_tbDpT10_ENKUlT_T0_E_clISt17integral_constantIbLb1EES1A_IbLb0EEEEDaS16_S17_EUlS16_E_NS1_11comp_targetILNS1_3genE9ELNS1_11target_archE1100ELNS1_3gpuE3ELNS1_3repE0EEENS1_30default_config_static_selectorELNS0_4arch9wavefront6targetE1EEEvT1_.kd
    .uniform_work_group_size: 1
    .uses_dynamic_stack: false
    .vgpr_count:     0
    .vgpr_spill_count: 0
    .wavefront_size: 64
  - .agpr_count:     0
    .args:
      - .offset:         0
        .size:           120
        .value_kind:     by_value
    .group_segment_fixed_size: 0
    .kernarg_segment_align: 8
    .kernarg_segment_size: 120
    .language:       OpenCL C
    .language_version:
      - 2
      - 0
    .max_flat_workgroup_size: 512
    .name:           _ZN7rocprim17ROCPRIM_400000_NS6detail17trampoline_kernelINS0_14default_configENS1_25partition_config_selectorILNS1_17partition_subalgoE5EiNS0_10empty_typeEbEEZZNS1_14partition_implILS5_5ELb0ES3_mN6thrust23THRUST_200600_302600_NS17counting_iteratorIiNSA_11use_defaultESC_SC_EEPS6_NSA_18transform_iteratorINSA_8identityIiEENSA_6detail15normal_iteratorINSA_10device_ptrIiEEEESC_SC_EENS0_5tupleIJSM_S6_EEENSO_IJSE_SE_EEES6_PlJS6_EEE10hipError_tPvRmT3_T4_T5_T6_T7_T9_mT8_P12ihipStream_tbDpT10_ENKUlT_T0_E_clISt17integral_constantIbLb1EES1A_IbLb0EEEEDaS16_S17_EUlS16_E_NS1_11comp_targetILNS1_3genE8ELNS1_11target_archE1030ELNS1_3gpuE2ELNS1_3repE0EEENS1_30default_config_static_selectorELNS0_4arch9wavefront6targetE1EEEvT1_
    .private_segment_fixed_size: 0
    .sgpr_count:     4
    .sgpr_spill_count: 0
    .symbol:         _ZN7rocprim17ROCPRIM_400000_NS6detail17trampoline_kernelINS0_14default_configENS1_25partition_config_selectorILNS1_17partition_subalgoE5EiNS0_10empty_typeEbEEZZNS1_14partition_implILS5_5ELb0ES3_mN6thrust23THRUST_200600_302600_NS17counting_iteratorIiNSA_11use_defaultESC_SC_EEPS6_NSA_18transform_iteratorINSA_8identityIiEENSA_6detail15normal_iteratorINSA_10device_ptrIiEEEESC_SC_EENS0_5tupleIJSM_S6_EEENSO_IJSE_SE_EEES6_PlJS6_EEE10hipError_tPvRmT3_T4_T5_T6_T7_T9_mT8_P12ihipStream_tbDpT10_ENKUlT_T0_E_clISt17integral_constantIbLb1EES1A_IbLb0EEEEDaS16_S17_EUlS16_E_NS1_11comp_targetILNS1_3genE8ELNS1_11target_archE1030ELNS1_3gpuE2ELNS1_3repE0EEENS1_30default_config_static_selectorELNS0_4arch9wavefront6targetE1EEEvT1_.kd
    .uniform_work_group_size: 1
    .uses_dynamic_stack: false
    .vgpr_count:     0
    .vgpr_spill_count: 0
    .wavefront_size: 64
  - .agpr_count:     0
    .args:
      - .address_space:  global
        .offset:         0
        .size:           8
        .value_kind:     global_buffer
      - .offset:         8
        .size:           4
        .value_kind:     by_value
      - .address_space:  global
        .offset:         16
        .size:           8
        .value_kind:     global_buffer
      - .offset:         24
        .size:           4
        .value_kind:     by_value
      - .address_space:  global
        .offset:         32
        .size:           8
        .value_kind:     global_buffer
      - .offset:         40
        .size:           4
        .value_kind:     hidden_block_count_x
      - .offset:         44
        .size:           4
        .value_kind:     hidden_block_count_y
      - .offset:         48
        .size:           4
        .value_kind:     hidden_block_count_z
      - .offset:         52
        .size:           2
        .value_kind:     hidden_group_size_x
      - .offset:         54
        .size:           2
        .value_kind:     hidden_group_size_y
      - .offset:         56
        .size:           2
        .value_kind:     hidden_group_size_z
      - .offset:         58
        .size:           2
        .value_kind:     hidden_remainder_x
      - .offset:         60
        .size:           2
        .value_kind:     hidden_remainder_y
      - .offset:         62
        .size:           2
        .value_kind:     hidden_remainder_z
      - .offset:         80
        .size:           8
        .value_kind:     hidden_global_offset_x
      - .offset:         88
        .size:           8
        .value_kind:     hidden_global_offset_y
      - .offset:         96
        .size:           8
        .value_kind:     hidden_global_offset_z
      - .offset:         104
        .size:           2
        .value_kind:     hidden_grid_dims
    .group_segment_fixed_size: 0
    .kernarg_segment_align: 8
    .kernarg_segment_size: 296
    .language:       OpenCL C
    .language_version:
      - 2
      - 0
    .max_flat_workgroup_size: 256
    .name:           _ZN7rocprim17ROCPRIM_400000_NS6detail31init_lookback_scan_state_kernelINS1_19lookback_scan_stateImLb0ELb1EEENS1_16block_id_wrapperIjLb1EEEEEvT_jT0_jPNS7_10value_typeE
    .private_segment_fixed_size: 0
    .sgpr_count:     19
    .sgpr_spill_count: 0
    .symbol:         _ZN7rocprim17ROCPRIM_400000_NS6detail31init_lookback_scan_state_kernelINS1_19lookback_scan_stateImLb0ELb1EEENS1_16block_id_wrapperIjLb1EEEEEvT_jT0_jPNS7_10value_typeE.kd
    .uniform_work_group_size: 1
    .uses_dynamic_stack: false
    .vgpr_count:     10
    .vgpr_spill_count: 0
    .wavefront_size: 64
  - .agpr_count:     0
    .args:
      - .offset:         0
        .size:           136
        .value_kind:     by_value
    .group_segment_fixed_size: 0
    .kernarg_segment_align: 8
    .kernarg_segment_size: 136
    .language:       OpenCL C
    .language_version:
      - 2
      - 0
    .max_flat_workgroup_size: 512
    .name:           _ZN7rocprim17ROCPRIM_400000_NS6detail17trampoline_kernelINS0_14default_configENS1_25partition_config_selectorILNS1_17partition_subalgoE5EiNS0_10empty_typeEbEEZZNS1_14partition_implILS5_5ELb0ES3_mN6thrust23THRUST_200600_302600_NS17counting_iteratorIiNSA_11use_defaultESC_SC_EEPS6_NSA_18transform_iteratorINSA_8identityIiEENSA_6detail15normal_iteratorINSA_10device_ptrIiEEEESC_SC_EENS0_5tupleIJSM_S6_EEENSO_IJSE_SE_EEES6_PlJS6_EEE10hipError_tPvRmT3_T4_T5_T6_T7_T9_mT8_P12ihipStream_tbDpT10_ENKUlT_T0_E_clISt17integral_constantIbLb0EES1A_IbLb1EEEEDaS16_S17_EUlS16_E_NS1_11comp_targetILNS1_3genE0ELNS1_11target_archE4294967295ELNS1_3gpuE0ELNS1_3repE0EEENS1_30default_config_static_selectorELNS0_4arch9wavefront6targetE1EEEvT1_
    .private_segment_fixed_size: 0
    .sgpr_count:     4
    .sgpr_spill_count: 0
    .symbol:         _ZN7rocprim17ROCPRIM_400000_NS6detail17trampoline_kernelINS0_14default_configENS1_25partition_config_selectorILNS1_17partition_subalgoE5EiNS0_10empty_typeEbEEZZNS1_14partition_implILS5_5ELb0ES3_mN6thrust23THRUST_200600_302600_NS17counting_iteratorIiNSA_11use_defaultESC_SC_EEPS6_NSA_18transform_iteratorINSA_8identityIiEENSA_6detail15normal_iteratorINSA_10device_ptrIiEEEESC_SC_EENS0_5tupleIJSM_S6_EEENSO_IJSE_SE_EEES6_PlJS6_EEE10hipError_tPvRmT3_T4_T5_T6_T7_T9_mT8_P12ihipStream_tbDpT10_ENKUlT_T0_E_clISt17integral_constantIbLb0EES1A_IbLb1EEEEDaS16_S17_EUlS16_E_NS1_11comp_targetILNS1_3genE0ELNS1_11target_archE4294967295ELNS1_3gpuE0ELNS1_3repE0EEENS1_30default_config_static_selectorELNS0_4arch9wavefront6targetE1EEEvT1_.kd
    .uniform_work_group_size: 1
    .uses_dynamic_stack: false
    .vgpr_count:     0
    .vgpr_spill_count: 0
    .wavefront_size: 64
  - .agpr_count:     0
    .args:
      - .offset:         0
        .size:           136
        .value_kind:     by_value
    .group_segment_fixed_size: 0
    .kernarg_segment_align: 8
    .kernarg_segment_size: 136
    .language:       OpenCL C
    .language_version:
      - 2
      - 0
    .max_flat_workgroup_size: 512
    .name:           _ZN7rocprim17ROCPRIM_400000_NS6detail17trampoline_kernelINS0_14default_configENS1_25partition_config_selectorILNS1_17partition_subalgoE5EiNS0_10empty_typeEbEEZZNS1_14partition_implILS5_5ELb0ES3_mN6thrust23THRUST_200600_302600_NS17counting_iteratorIiNSA_11use_defaultESC_SC_EEPS6_NSA_18transform_iteratorINSA_8identityIiEENSA_6detail15normal_iteratorINSA_10device_ptrIiEEEESC_SC_EENS0_5tupleIJSM_S6_EEENSO_IJSE_SE_EEES6_PlJS6_EEE10hipError_tPvRmT3_T4_T5_T6_T7_T9_mT8_P12ihipStream_tbDpT10_ENKUlT_T0_E_clISt17integral_constantIbLb0EES1A_IbLb1EEEEDaS16_S17_EUlS16_E_NS1_11comp_targetILNS1_3genE5ELNS1_11target_archE942ELNS1_3gpuE9ELNS1_3repE0EEENS1_30default_config_static_selectorELNS0_4arch9wavefront6targetE1EEEvT1_
    .private_segment_fixed_size: 0
    .sgpr_count:     4
    .sgpr_spill_count: 0
    .symbol:         _ZN7rocprim17ROCPRIM_400000_NS6detail17trampoline_kernelINS0_14default_configENS1_25partition_config_selectorILNS1_17partition_subalgoE5EiNS0_10empty_typeEbEEZZNS1_14partition_implILS5_5ELb0ES3_mN6thrust23THRUST_200600_302600_NS17counting_iteratorIiNSA_11use_defaultESC_SC_EEPS6_NSA_18transform_iteratorINSA_8identityIiEENSA_6detail15normal_iteratorINSA_10device_ptrIiEEEESC_SC_EENS0_5tupleIJSM_S6_EEENSO_IJSE_SE_EEES6_PlJS6_EEE10hipError_tPvRmT3_T4_T5_T6_T7_T9_mT8_P12ihipStream_tbDpT10_ENKUlT_T0_E_clISt17integral_constantIbLb0EES1A_IbLb1EEEEDaS16_S17_EUlS16_E_NS1_11comp_targetILNS1_3genE5ELNS1_11target_archE942ELNS1_3gpuE9ELNS1_3repE0EEENS1_30default_config_static_selectorELNS0_4arch9wavefront6targetE1EEEvT1_.kd
    .uniform_work_group_size: 1
    .uses_dynamic_stack: false
    .vgpr_count:     0
    .vgpr_spill_count: 0
    .wavefront_size: 64
  - .agpr_count:     0
    .args:
      - .offset:         0
        .size:           136
        .value_kind:     by_value
    .group_segment_fixed_size: 7184
    .kernarg_segment_align: 8
    .kernarg_segment_size: 136
    .language:       OpenCL C
    .language_version:
      - 2
      - 0
    .max_flat_workgroup_size: 256
    .name:           _ZN7rocprim17ROCPRIM_400000_NS6detail17trampoline_kernelINS0_14default_configENS1_25partition_config_selectorILNS1_17partition_subalgoE5EiNS0_10empty_typeEbEEZZNS1_14partition_implILS5_5ELb0ES3_mN6thrust23THRUST_200600_302600_NS17counting_iteratorIiNSA_11use_defaultESC_SC_EEPS6_NSA_18transform_iteratorINSA_8identityIiEENSA_6detail15normal_iteratorINSA_10device_ptrIiEEEESC_SC_EENS0_5tupleIJSM_S6_EEENSO_IJSE_SE_EEES6_PlJS6_EEE10hipError_tPvRmT3_T4_T5_T6_T7_T9_mT8_P12ihipStream_tbDpT10_ENKUlT_T0_E_clISt17integral_constantIbLb0EES1A_IbLb1EEEEDaS16_S17_EUlS16_E_NS1_11comp_targetILNS1_3genE4ELNS1_11target_archE910ELNS1_3gpuE8ELNS1_3repE0EEENS1_30default_config_static_selectorELNS0_4arch9wavefront6targetE1EEEvT1_
    .private_segment_fixed_size: 0
    .sgpr_count:     32
    .sgpr_spill_count: 0
    .symbol:         _ZN7rocprim17ROCPRIM_400000_NS6detail17trampoline_kernelINS0_14default_configENS1_25partition_config_selectorILNS1_17partition_subalgoE5EiNS0_10empty_typeEbEEZZNS1_14partition_implILS5_5ELb0ES3_mN6thrust23THRUST_200600_302600_NS17counting_iteratorIiNSA_11use_defaultESC_SC_EEPS6_NSA_18transform_iteratorINSA_8identityIiEENSA_6detail15normal_iteratorINSA_10device_ptrIiEEEESC_SC_EENS0_5tupleIJSM_S6_EEENSO_IJSE_SE_EEES6_PlJS6_EEE10hipError_tPvRmT3_T4_T5_T6_T7_T9_mT8_P12ihipStream_tbDpT10_ENKUlT_T0_E_clISt17integral_constantIbLb0EES1A_IbLb1EEEEDaS16_S17_EUlS16_E_NS1_11comp_targetILNS1_3genE4ELNS1_11target_archE910ELNS1_3gpuE8ELNS1_3repE0EEENS1_30default_config_static_selectorELNS0_4arch9wavefront6targetE1EEEvT1_.kd
    .uniform_work_group_size: 1
    .uses_dynamic_stack: false
    .vgpr_count:     58
    .vgpr_spill_count: 0
    .wavefront_size: 64
  - .agpr_count:     0
    .args:
      - .offset:         0
        .size:           136
        .value_kind:     by_value
    .group_segment_fixed_size: 0
    .kernarg_segment_align: 8
    .kernarg_segment_size: 136
    .language:       OpenCL C
    .language_version:
      - 2
      - 0
    .max_flat_workgroup_size: 512
    .name:           _ZN7rocprim17ROCPRIM_400000_NS6detail17trampoline_kernelINS0_14default_configENS1_25partition_config_selectorILNS1_17partition_subalgoE5EiNS0_10empty_typeEbEEZZNS1_14partition_implILS5_5ELb0ES3_mN6thrust23THRUST_200600_302600_NS17counting_iteratorIiNSA_11use_defaultESC_SC_EEPS6_NSA_18transform_iteratorINSA_8identityIiEENSA_6detail15normal_iteratorINSA_10device_ptrIiEEEESC_SC_EENS0_5tupleIJSM_S6_EEENSO_IJSE_SE_EEES6_PlJS6_EEE10hipError_tPvRmT3_T4_T5_T6_T7_T9_mT8_P12ihipStream_tbDpT10_ENKUlT_T0_E_clISt17integral_constantIbLb0EES1A_IbLb1EEEEDaS16_S17_EUlS16_E_NS1_11comp_targetILNS1_3genE3ELNS1_11target_archE908ELNS1_3gpuE7ELNS1_3repE0EEENS1_30default_config_static_selectorELNS0_4arch9wavefront6targetE1EEEvT1_
    .private_segment_fixed_size: 0
    .sgpr_count:     4
    .sgpr_spill_count: 0
    .symbol:         _ZN7rocprim17ROCPRIM_400000_NS6detail17trampoline_kernelINS0_14default_configENS1_25partition_config_selectorILNS1_17partition_subalgoE5EiNS0_10empty_typeEbEEZZNS1_14partition_implILS5_5ELb0ES3_mN6thrust23THRUST_200600_302600_NS17counting_iteratorIiNSA_11use_defaultESC_SC_EEPS6_NSA_18transform_iteratorINSA_8identityIiEENSA_6detail15normal_iteratorINSA_10device_ptrIiEEEESC_SC_EENS0_5tupleIJSM_S6_EEENSO_IJSE_SE_EEES6_PlJS6_EEE10hipError_tPvRmT3_T4_T5_T6_T7_T9_mT8_P12ihipStream_tbDpT10_ENKUlT_T0_E_clISt17integral_constantIbLb0EES1A_IbLb1EEEEDaS16_S17_EUlS16_E_NS1_11comp_targetILNS1_3genE3ELNS1_11target_archE908ELNS1_3gpuE7ELNS1_3repE0EEENS1_30default_config_static_selectorELNS0_4arch9wavefront6targetE1EEEvT1_.kd
    .uniform_work_group_size: 1
    .uses_dynamic_stack: false
    .vgpr_count:     0
    .vgpr_spill_count: 0
    .wavefront_size: 64
  - .agpr_count:     0
    .args:
      - .offset:         0
        .size:           136
        .value_kind:     by_value
    .group_segment_fixed_size: 0
    .kernarg_segment_align: 8
    .kernarg_segment_size: 136
    .language:       OpenCL C
    .language_version:
      - 2
      - 0
    .max_flat_workgroup_size: 256
    .name:           _ZN7rocprim17ROCPRIM_400000_NS6detail17trampoline_kernelINS0_14default_configENS1_25partition_config_selectorILNS1_17partition_subalgoE5EiNS0_10empty_typeEbEEZZNS1_14partition_implILS5_5ELb0ES3_mN6thrust23THRUST_200600_302600_NS17counting_iteratorIiNSA_11use_defaultESC_SC_EEPS6_NSA_18transform_iteratorINSA_8identityIiEENSA_6detail15normal_iteratorINSA_10device_ptrIiEEEESC_SC_EENS0_5tupleIJSM_S6_EEENSO_IJSE_SE_EEES6_PlJS6_EEE10hipError_tPvRmT3_T4_T5_T6_T7_T9_mT8_P12ihipStream_tbDpT10_ENKUlT_T0_E_clISt17integral_constantIbLb0EES1A_IbLb1EEEEDaS16_S17_EUlS16_E_NS1_11comp_targetILNS1_3genE2ELNS1_11target_archE906ELNS1_3gpuE6ELNS1_3repE0EEENS1_30default_config_static_selectorELNS0_4arch9wavefront6targetE1EEEvT1_
    .private_segment_fixed_size: 0
    .sgpr_count:     4
    .sgpr_spill_count: 0
    .symbol:         _ZN7rocprim17ROCPRIM_400000_NS6detail17trampoline_kernelINS0_14default_configENS1_25partition_config_selectorILNS1_17partition_subalgoE5EiNS0_10empty_typeEbEEZZNS1_14partition_implILS5_5ELb0ES3_mN6thrust23THRUST_200600_302600_NS17counting_iteratorIiNSA_11use_defaultESC_SC_EEPS6_NSA_18transform_iteratorINSA_8identityIiEENSA_6detail15normal_iteratorINSA_10device_ptrIiEEEESC_SC_EENS0_5tupleIJSM_S6_EEENSO_IJSE_SE_EEES6_PlJS6_EEE10hipError_tPvRmT3_T4_T5_T6_T7_T9_mT8_P12ihipStream_tbDpT10_ENKUlT_T0_E_clISt17integral_constantIbLb0EES1A_IbLb1EEEEDaS16_S17_EUlS16_E_NS1_11comp_targetILNS1_3genE2ELNS1_11target_archE906ELNS1_3gpuE6ELNS1_3repE0EEENS1_30default_config_static_selectorELNS0_4arch9wavefront6targetE1EEEvT1_.kd
    .uniform_work_group_size: 1
    .uses_dynamic_stack: false
    .vgpr_count:     0
    .vgpr_spill_count: 0
    .wavefront_size: 64
  - .agpr_count:     0
    .args:
      - .offset:         0
        .size:           136
        .value_kind:     by_value
    .group_segment_fixed_size: 0
    .kernarg_segment_align: 8
    .kernarg_segment_size: 136
    .language:       OpenCL C
    .language_version:
      - 2
      - 0
    .max_flat_workgroup_size: 192
    .name:           _ZN7rocprim17ROCPRIM_400000_NS6detail17trampoline_kernelINS0_14default_configENS1_25partition_config_selectorILNS1_17partition_subalgoE5EiNS0_10empty_typeEbEEZZNS1_14partition_implILS5_5ELb0ES3_mN6thrust23THRUST_200600_302600_NS17counting_iteratorIiNSA_11use_defaultESC_SC_EEPS6_NSA_18transform_iteratorINSA_8identityIiEENSA_6detail15normal_iteratorINSA_10device_ptrIiEEEESC_SC_EENS0_5tupleIJSM_S6_EEENSO_IJSE_SE_EEES6_PlJS6_EEE10hipError_tPvRmT3_T4_T5_T6_T7_T9_mT8_P12ihipStream_tbDpT10_ENKUlT_T0_E_clISt17integral_constantIbLb0EES1A_IbLb1EEEEDaS16_S17_EUlS16_E_NS1_11comp_targetILNS1_3genE10ELNS1_11target_archE1200ELNS1_3gpuE4ELNS1_3repE0EEENS1_30default_config_static_selectorELNS0_4arch9wavefront6targetE1EEEvT1_
    .private_segment_fixed_size: 0
    .sgpr_count:     4
    .sgpr_spill_count: 0
    .symbol:         _ZN7rocprim17ROCPRIM_400000_NS6detail17trampoline_kernelINS0_14default_configENS1_25partition_config_selectorILNS1_17partition_subalgoE5EiNS0_10empty_typeEbEEZZNS1_14partition_implILS5_5ELb0ES3_mN6thrust23THRUST_200600_302600_NS17counting_iteratorIiNSA_11use_defaultESC_SC_EEPS6_NSA_18transform_iteratorINSA_8identityIiEENSA_6detail15normal_iteratorINSA_10device_ptrIiEEEESC_SC_EENS0_5tupleIJSM_S6_EEENSO_IJSE_SE_EEES6_PlJS6_EEE10hipError_tPvRmT3_T4_T5_T6_T7_T9_mT8_P12ihipStream_tbDpT10_ENKUlT_T0_E_clISt17integral_constantIbLb0EES1A_IbLb1EEEEDaS16_S17_EUlS16_E_NS1_11comp_targetILNS1_3genE10ELNS1_11target_archE1200ELNS1_3gpuE4ELNS1_3repE0EEENS1_30default_config_static_selectorELNS0_4arch9wavefront6targetE1EEEvT1_.kd
    .uniform_work_group_size: 1
    .uses_dynamic_stack: false
    .vgpr_count:     0
    .vgpr_spill_count: 0
    .wavefront_size: 64
  - .agpr_count:     0
    .args:
      - .offset:         0
        .size:           136
        .value_kind:     by_value
    .group_segment_fixed_size: 0
    .kernarg_segment_align: 8
    .kernarg_segment_size: 136
    .language:       OpenCL C
    .language_version:
      - 2
      - 0
    .max_flat_workgroup_size: 128
    .name:           _ZN7rocprim17ROCPRIM_400000_NS6detail17trampoline_kernelINS0_14default_configENS1_25partition_config_selectorILNS1_17partition_subalgoE5EiNS0_10empty_typeEbEEZZNS1_14partition_implILS5_5ELb0ES3_mN6thrust23THRUST_200600_302600_NS17counting_iteratorIiNSA_11use_defaultESC_SC_EEPS6_NSA_18transform_iteratorINSA_8identityIiEENSA_6detail15normal_iteratorINSA_10device_ptrIiEEEESC_SC_EENS0_5tupleIJSM_S6_EEENSO_IJSE_SE_EEES6_PlJS6_EEE10hipError_tPvRmT3_T4_T5_T6_T7_T9_mT8_P12ihipStream_tbDpT10_ENKUlT_T0_E_clISt17integral_constantIbLb0EES1A_IbLb1EEEEDaS16_S17_EUlS16_E_NS1_11comp_targetILNS1_3genE9ELNS1_11target_archE1100ELNS1_3gpuE3ELNS1_3repE0EEENS1_30default_config_static_selectorELNS0_4arch9wavefront6targetE1EEEvT1_
    .private_segment_fixed_size: 0
    .sgpr_count:     4
    .sgpr_spill_count: 0
    .symbol:         _ZN7rocprim17ROCPRIM_400000_NS6detail17trampoline_kernelINS0_14default_configENS1_25partition_config_selectorILNS1_17partition_subalgoE5EiNS0_10empty_typeEbEEZZNS1_14partition_implILS5_5ELb0ES3_mN6thrust23THRUST_200600_302600_NS17counting_iteratorIiNSA_11use_defaultESC_SC_EEPS6_NSA_18transform_iteratorINSA_8identityIiEENSA_6detail15normal_iteratorINSA_10device_ptrIiEEEESC_SC_EENS0_5tupleIJSM_S6_EEENSO_IJSE_SE_EEES6_PlJS6_EEE10hipError_tPvRmT3_T4_T5_T6_T7_T9_mT8_P12ihipStream_tbDpT10_ENKUlT_T0_E_clISt17integral_constantIbLb0EES1A_IbLb1EEEEDaS16_S17_EUlS16_E_NS1_11comp_targetILNS1_3genE9ELNS1_11target_archE1100ELNS1_3gpuE3ELNS1_3repE0EEENS1_30default_config_static_selectorELNS0_4arch9wavefront6targetE1EEEvT1_.kd
    .uniform_work_group_size: 1
    .uses_dynamic_stack: false
    .vgpr_count:     0
    .vgpr_spill_count: 0
    .wavefront_size: 64
  - .agpr_count:     0
    .args:
      - .offset:         0
        .size:           136
        .value_kind:     by_value
    .group_segment_fixed_size: 0
    .kernarg_segment_align: 8
    .kernarg_segment_size: 136
    .language:       OpenCL C
    .language_version:
      - 2
      - 0
    .max_flat_workgroup_size: 512
    .name:           _ZN7rocprim17ROCPRIM_400000_NS6detail17trampoline_kernelINS0_14default_configENS1_25partition_config_selectorILNS1_17partition_subalgoE5EiNS0_10empty_typeEbEEZZNS1_14partition_implILS5_5ELb0ES3_mN6thrust23THRUST_200600_302600_NS17counting_iteratorIiNSA_11use_defaultESC_SC_EEPS6_NSA_18transform_iteratorINSA_8identityIiEENSA_6detail15normal_iteratorINSA_10device_ptrIiEEEESC_SC_EENS0_5tupleIJSM_S6_EEENSO_IJSE_SE_EEES6_PlJS6_EEE10hipError_tPvRmT3_T4_T5_T6_T7_T9_mT8_P12ihipStream_tbDpT10_ENKUlT_T0_E_clISt17integral_constantIbLb0EES1A_IbLb1EEEEDaS16_S17_EUlS16_E_NS1_11comp_targetILNS1_3genE8ELNS1_11target_archE1030ELNS1_3gpuE2ELNS1_3repE0EEENS1_30default_config_static_selectorELNS0_4arch9wavefront6targetE1EEEvT1_
    .private_segment_fixed_size: 0
    .sgpr_count:     4
    .sgpr_spill_count: 0
    .symbol:         _ZN7rocprim17ROCPRIM_400000_NS6detail17trampoline_kernelINS0_14default_configENS1_25partition_config_selectorILNS1_17partition_subalgoE5EiNS0_10empty_typeEbEEZZNS1_14partition_implILS5_5ELb0ES3_mN6thrust23THRUST_200600_302600_NS17counting_iteratorIiNSA_11use_defaultESC_SC_EEPS6_NSA_18transform_iteratorINSA_8identityIiEENSA_6detail15normal_iteratorINSA_10device_ptrIiEEEESC_SC_EENS0_5tupleIJSM_S6_EEENSO_IJSE_SE_EEES6_PlJS6_EEE10hipError_tPvRmT3_T4_T5_T6_T7_T9_mT8_P12ihipStream_tbDpT10_ENKUlT_T0_E_clISt17integral_constantIbLb0EES1A_IbLb1EEEEDaS16_S17_EUlS16_E_NS1_11comp_targetILNS1_3genE8ELNS1_11target_archE1030ELNS1_3gpuE2ELNS1_3repE0EEENS1_30default_config_static_selectorELNS0_4arch9wavefront6targetE1EEEvT1_.kd
    .uniform_work_group_size: 1
    .uses_dynamic_stack: false
    .vgpr_count:     0
    .vgpr_spill_count: 0
    .wavefront_size: 64
  - .agpr_count:     0
    .args:
      - .offset:         0
        .size:           16
        .value_kind:     by_value
      - .offset:         16
        .size:           8
        .value_kind:     by_value
      - .offset:         24
        .size:           8
        .value_kind:     by_value
    .group_segment_fixed_size: 0
    .kernarg_segment_align: 8
    .kernarg_segment_size: 32
    .language:       OpenCL C
    .language_version:
      - 2
      - 0
    .max_flat_workgroup_size: 256
    .name:           _ZN6thrust23THRUST_200600_302600_NS11hip_rocprim14__parallel_for6kernelILj256ENS1_20__uninitialized_copy7functorINS0_6detail15normal_iteratorINS0_10device_ptrIiEEEENS0_7pointerIiNS1_3tagENS0_11use_defaultESD_EEEEmLj1EEEvT0_T1_SH_
    .private_segment_fixed_size: 0
    .sgpr_count:     20
    .sgpr_spill_count: 0
    .symbol:         _ZN6thrust23THRUST_200600_302600_NS11hip_rocprim14__parallel_for6kernelILj256ENS1_20__uninitialized_copy7functorINS0_6detail15normal_iteratorINS0_10device_ptrIiEEEENS0_7pointerIiNS1_3tagENS0_11use_defaultESD_EEEEmLj1EEEvT0_T1_SH_.kd
    .uniform_work_group_size: 1
    .uses_dynamic_stack: false
    .vgpr_count:     6
    .vgpr_spill_count: 0
    .wavefront_size: 64
amdhsa.target:   amdgcn-amd-amdhsa--gfx90a
amdhsa.version:
  - 1
  - 2
...

	.end_amdgpu_metadata
